;; amdgpu-corpus repo=ROCm/rocFFT kind=compiled arch=gfx906 opt=O3
	.text
	.amdgcn_target "amdgcn-amd-amdhsa--gfx906"
	.amdhsa_code_object_version 6
	.protected	bluestein_single_fwd_len1944_dim1_half_op_CI_CI ; -- Begin function bluestein_single_fwd_len1944_dim1_half_op_CI_CI
	.globl	bluestein_single_fwd_len1944_dim1_half_op_CI_CI
	.p2align	8
	.type	bluestein_single_fwd_len1944_dim1_half_op_CI_CI,@function
bluestein_single_fwd_len1944_dim1_half_op_CI_CI: ; @bluestein_single_fwd_len1944_dim1_half_op_CI_CI
; %bb.0:
	s_load_dwordx4 s[8:11], s[4:5], 0x28
	v_mul_u32_u24_e32 v1, 0x10e, v0
	v_add_u32_sdwa v9, s6, v1 dst_sel:DWORD dst_unused:UNUSED_PAD src0_sel:DWORD src1_sel:WORD_1
	v_mov_b32_e32 v10, 0
	s_waitcnt lgkmcnt(0)
	v_cmp_gt_u64_e32 vcc, s[8:9], v[9:10]
	s_and_saveexec_b64 s[0:1], vcc
	s_cbranch_execz .LBB0_47
; %bb.1:
	s_load_dwordx4 s[12:15], s[4:5], 0x18
	s_movk_i32 s6, 0xf3
	v_mul_lo_u16_sdwa v1, v1, s6 dst_sel:DWORD dst_unused:UNUSED_PAD src0_sel:WORD_1 src1_sel:DWORD
	v_sub_u16_e32 v45, v0, v1
	v_lshlrev_b32_e32 v40, 2, v45
	s_waitcnt lgkmcnt(0)
	s_load_dwordx4 s[0:3], s[12:13], 0x0
	s_waitcnt lgkmcnt(0)
	v_mad_u64_u32 v[0:1], s[6:7], s2, v9, 0
	v_mad_u64_u32 v[2:3], s[6:7], s0, v45, 0
	s_load_dwordx2 s[12:13], s[4:5], 0x0
	s_mul_i32 s6, s1, 0x288
	v_mad_u64_u32 v[4:5], s[2:3], s3, v9, v[1:2]
	s_mul_hi_u32 s7, s0, 0x288
	s_add_i32 s7, s7, s6
	v_mad_u64_u32 v[5:6], s[2:3], s1, v45, v[3:4]
	v_mov_b32_e32 v1, v4
	v_lshlrev_b64 v[0:1], 2, v[0:1]
	v_mov_b32_e32 v6, s11
	v_mov_b32_e32 v3, v5
	v_add_co_u32_e32 v4, vcc, s10, v0
	v_addc_co_u32_e32 v5, vcc, v6, v1, vcc
	v_lshlrev_b64 v[0:1], 2, v[2:3]
	s_waitcnt lgkmcnt(0)
	v_mov_b32_e32 v2, s13
	v_add_co_u32_e32 v0, vcc, v4, v0
	v_add_co_u32_e64 v7, s[2:3], s12, v40
	s_mul_i32 s6, s0, 0x288
	v_addc_co_u32_e32 v1, vcc, v5, v1, vcc
	v_addc_co_u32_e64 v8, vcc, 0, v2, s[2:3]
	s_lshl_b64 s[16:17], s[6:7], 2
	v_mov_b32_e32 v6, s17
	v_add_co_u32_e32 v2, vcc, s16, v0
	v_addc_co_u32_e32 v3, vcc, v1, v6, vcc
	v_add_co_u32_e32 v4, vcc, s16, v2
	v_addc_co_u32_e32 v5, vcc, v3, v6, vcc
	s_movk_i32 s6, 0x1000
	global_load_dword v47, v40, s[12:13]
	global_load_dword v46, v40, s[12:13] offset:2592
	global_load_dword v10, v[0:1], off
	global_load_dword v11, v[2:3], off
	;; [unrolled: 1-line block ×3, first 2 shown]
	v_add_co_u32_e32 v0, vcc, s6, v7
	s_mul_hi_u32 s6, s0, 0xfffffbe3
	s_mulk_i32 s1, 0xfbe3
	s_sub_i32 s6, s6, s0
	s_add_i32 s1, s6, s1
	s_mulk_i32 s0, 0xfbe3
	v_addc_co_u32_e32 v1, vcc, 0, v8, vcc
	s_lshl_b64 s[18:19], s[0:1], 2
	global_load_dword v44, v[0:1], off offset:1088
	v_mov_b32_e32 v3, s19
	v_add_co_u32_e32 v2, vcc, s18, v4
	v_addc_co_u32_e32 v3, vcc, v5, v3, vcc
	global_load_dword v4, v[2:3], off
	global_load_dword v42, v40, s[12:13] offset:3564
	global_load_dword v43, v40, s[12:13] offset:972
	v_add_co_u32_e32 v2, vcc, s16, v2
	v_addc_co_u32_e32 v3, vcc, v3, v6, vcc
	global_load_dword v5, v[2:3], off
	v_add_co_u32_e32 v2, vcc, s16, v2
	v_addc_co_u32_e32 v3, vcc, v3, v6, vcc
	global_load_dword v6, v[2:3], off
	global_load_dword v41, v[0:1], off offset:2060
	s_load_dwordx2 s[6:7], s[4:5], 0x38
	s_load_dwordx4 s[8:11], s[14:15], 0x0
	s_movk_i32 s0, 0xa2
	v_cmp_gt_u16_e64 s[0:1], s0, v45
	s_waitcnt vmcnt(9)
	v_lshrrev_b32_e32 v13, 16, v10
	v_mul_f16_sdwa v14, v47, v10 dst_sel:DWORD dst_unused:UNUSED_PAD src0_sel:WORD_1 src1_sel:DWORD
	v_mul_f16_sdwa v15, v47, v13 dst_sel:DWORD dst_unused:UNUSED_PAD src0_sel:WORD_1 src1_sel:DWORD
	v_fma_f16 v13, v47, v13, -v14
	s_waitcnt vmcnt(8)
	v_lshrrev_b32_e32 v14, 16, v11
	v_mul_f16_sdwa v16, v46, v11 dst_sel:DWORD dst_unused:UNUSED_PAD src0_sel:WORD_1 src1_sel:DWORD
	v_fma_f16 v10, v47, v10, v15
	v_mul_f16_sdwa v15, v46, v14 dst_sel:DWORD dst_unused:UNUSED_PAD src0_sel:WORD_1 src1_sel:DWORD
	v_fma_f16 v14, v46, v14, -v16
	s_waitcnt vmcnt(7)
	v_lshrrev_b32_e32 v16, 16, v12
	v_pack_b32_f16 v10, v10, v13
	v_fma_f16 v11, v46, v11, v15
	v_pack_b32_f16 v11, v11, v14
	s_waitcnt vmcnt(6)
	v_mul_f16_sdwa v17, v44, v12 dst_sel:DWORD dst_unused:UNUSED_PAD src0_sel:WORD_1 src1_sel:DWORD
	v_mul_f16_sdwa v13, v44, v16 dst_sel:DWORD dst_unused:UNUSED_PAD src0_sel:WORD_1 src1_sel:DWORD
	v_fma_f16 v15, v44, v16, -v17
	v_fma_f16 v12, v44, v12, v13
	s_waitcnt vmcnt(5)
	v_lshrrev_b32_e32 v16, 16, v4
	ds_write_b32 v40, v11 offset:2592
	s_waitcnt vmcnt(3)
	v_mul_f16_sdwa v17, v43, v4 dst_sel:DWORD dst_unused:UNUSED_PAD src0_sel:WORD_1 src1_sel:DWORD
	v_mul_f16_sdwa v13, v43, v16 dst_sel:DWORD dst_unused:UNUSED_PAD src0_sel:WORD_1 src1_sel:DWORD
	v_pack_b32_f16 v11, v12, v15
	v_fma_f16 v4, v43, v4, v13
	ds_write_b32 v40, v11 offset:5184
	v_fma_f16 v11, v43, v16, -v17
	v_pack_b32_f16 v4, v4, v11
	ds_write2_b32 v40, v10, v4 offset1:243
	s_waitcnt vmcnt(2)
	v_lshrrev_b32_e32 v4, 16, v5
	v_mul_f16_sdwa v10, v42, v4 dst_sel:DWORD dst_unused:UNUSED_PAD src0_sel:WORD_1 src1_sel:DWORD
	v_fma_f16 v10, v42, v5, v10
	v_mul_f16_sdwa v5, v42, v5 dst_sel:DWORD dst_unused:UNUSED_PAD src0_sel:WORD_1 src1_sel:DWORD
	v_fma_f16 v4, v42, v4, -v5
	v_pack_b32_f16 v4, v10, v4
	ds_write_b32 v40, v4 offset:3564
	s_waitcnt vmcnt(1)
	v_lshrrev_b32_e32 v4, 16, v6
	s_waitcnt vmcnt(0)
	v_mul_f16_sdwa v5, v41, v4 dst_sel:DWORD dst_unused:UNUSED_PAD src0_sel:WORD_1 src1_sel:DWORD
	v_fma_f16 v5, v41, v6, v5
	v_mul_f16_sdwa v6, v41, v6 dst_sel:DWORD dst_unused:UNUSED_PAD src0_sel:WORD_1 src1_sel:DWORD
	v_fma_f16 v4, v41, v4, -v6
	v_pack_b32_f16 v4, v5, v4
	ds_write_b32 v40, v4 offset:6156
	s_and_saveexec_b64 s[14:15], s[0:1]
	s_cbranch_execz .LBB0_3
; %bb.2:
	v_mov_b32_e32 v4, s19
	v_add_co_u32_e32 v2, vcc, s18, v2
	v_addc_co_u32_e32 v3, vcc, v3, v4, vcc
	global_load_dword v4, v[2:3], off
	global_load_dword v5, v[7:8], off offset:1944
	v_mov_b32_e32 v6, s17
	v_add_co_u32_e32 v2, vcc, s16, v2
	v_addc_co_u32_e32 v3, vcc, v3, v6, vcc
	global_load_dword v10, v[2:3], off
	global_load_dword v11, v[0:1], off offset:440
	v_add_co_u32_e32 v2, vcc, s16, v2
	v_addc_co_u32_e32 v3, vcc, v3, v6, vcc
	global_load_dword v6, v[2:3], off
	global_load_dword v12, v[0:1], off offset:3032
	s_waitcnt vmcnt(5)
	v_lshrrev_b32_e32 v0, 16, v4
	s_waitcnt vmcnt(4)
	v_mul_f16_sdwa v1, v5, v4 dst_sel:DWORD dst_unused:UNUSED_PAD src0_sel:WORD_1 src1_sel:DWORD
	v_mul_f16_sdwa v2, v5, v0 dst_sel:DWORD dst_unused:UNUSED_PAD src0_sel:WORD_1 src1_sel:DWORD
	v_fma_f16 v0, v5, v0, -v1
	v_fma_f16 v2, v5, v4, v2
	v_pack_b32_f16 v0, v2, v0
	s_waitcnt vmcnt(3)
	v_lshrrev_b32_e32 v1, 16, v10
	s_waitcnt vmcnt(2)
	v_mul_f16_sdwa v3, v11, v10 dst_sel:DWORD dst_unused:UNUSED_PAD src0_sel:WORD_1 src1_sel:DWORD
	v_mul_f16_sdwa v4, v11, v1 dst_sel:DWORD dst_unused:UNUSED_PAD src0_sel:WORD_1 src1_sel:DWORD
	v_fma_f16 v1, v11, v1, -v3
	v_fma_f16 v2, v11, v10, v4
	s_waitcnt vmcnt(1)
	v_lshrrev_b32_e32 v3, 16, v6
	s_waitcnt vmcnt(0)
	v_mul_f16_sdwa v5, v12, v6 dst_sel:DWORD dst_unused:UNUSED_PAD src0_sel:WORD_1 src1_sel:DWORD
	v_mul_f16_sdwa v4, v12, v3 dst_sel:DWORD dst_unused:UNUSED_PAD src0_sel:WORD_1 src1_sel:DWORD
	v_fma_f16 v3, v12, v3, -v5
	ds_write_b32 v40, v0 offset:1944
	v_pack_b32_f16 v0, v2, v1
	v_fma_f16 v1, v12, v6, v4
	ds_write_b32 v40, v0 offset:4536
	v_pack_b32_f16 v0, v1, v3
	ds_write_b32 v40, v0 offset:7128
.LBB0_3:
	s_or_b64 exec, exec, s[14:15]
	v_add_u32_e32 v2, 0xa00, v40
	v_add_u32_e32 v4, 0x1440, v40
	s_waitcnt lgkmcnt(0)
	s_barrier
	ds_read2_b32 v[0:1], v40 offset1:243
	ds_read2_b32 v[2:3], v2 offset0:8 offset1:251
	ds_read2_b32 v[4:5], v4 offset1:243
                                        ; implicit-def: $vgpr10
                                        ; implicit-def: $vgpr11
                                        ; implicit-def: $vgpr12
	s_and_saveexec_b64 s[14:15], s[0:1]
	s_cbranch_execz .LBB0_5
; %bb.4:
	ds_read_b32 v12, v40 offset:1944
	ds_read_b32 v11, v40 offset:4536
	;; [unrolled: 1-line block ×3, first 2 shown]
.LBB0_5:
	s_or_b64 exec, exec, s[14:15]
	v_add_co_u32_e32 v32, vcc, 0xf3, v45
	v_add_co_u32_e32 v28, vcc, 0x1e6, v45
	v_addc_co_u32_e64 v29, s[14:15], 0, 0, vcc
	s_waitcnt lgkmcnt(1)
	v_pk_add_f16 v6, v11, v12
	s_waitcnt lgkmcnt(0)
	v_pk_add_f16 v6, v10, v6
	v_pk_add_f16 v15, v10, v11
	v_pk_add_f16 v10, v11, v10 neg_lo:[0,1] neg_hi:[0,1]
	s_movk_i32 s14, 0x3aee
	v_pk_add_f16 v13, v0, v2
	v_pk_fma_f16 v12, v15, 0.5, v12 op_sel_hi:[1,0,1] neg_lo:[1,0,0] neg_hi:[1,0,0]
	v_pk_mul_f16 v10, v10, s14 op_sel_hi:[1,0]
	v_pk_add_f16 v11, v2, v4
	v_pk_add_f16 v2, v2, v4 neg_lo:[0,1] neg_hi:[0,1]
	v_pk_add_f16 v16, v12, v10 op_sel:[0,1] op_sel_hi:[1,0]
	v_pk_add_f16 v18, v12, v10 op_sel:[0,1] op_sel_hi:[1,0] neg_lo:[0,1] neg_hi:[0,1]
	v_mul_lo_u16_e32 v10, 3, v45
	v_pk_fma_f16 v0, v11, 0.5, v0 op_sel_hi:[1,0,1] neg_lo:[1,0,0] neg_hi:[1,0,0]
	v_pk_mul_f16 v2, v2, s14 op_sel_hi:[1,0]
	v_lshlrev_b32_e32 v48, 2, v10
	v_pk_add_f16 v10, v13, v4
	v_pk_add_f16 v4, v0, v2 op_sel:[0,1] op_sel_hi:[1,0]
	v_pk_add_f16 v0, v0, v2 op_sel:[0,1] op_sel_hi:[1,0] neg_lo:[0,1] neg_hi:[0,1]
	s_mov_b32 s12, 0xffff
	v_bfi_b32 v2, s12, v4, v0
	s_barrier
	ds_write2_b32 v48, v10, v2 offset1:1
	v_pk_add_f16 v2, v3, v5
	s_load_dwordx2 s[4:5], s[4:5], 0x8
	v_pk_add_f16 v14, v1, v3
	v_pk_fma_f16 v1, v2, 0.5, v1 op_sel_hi:[1,0,1] neg_lo:[1,0,0] neg_hi:[1,0,0]
	v_pk_add_f16 v2, v3, v5 neg_lo:[0,1] neg_hi:[0,1]
	v_bfi_b32 v0, s12, v0, v4
	v_pk_mul_f16 v2, v2, s14 op_sel_hi:[1,0]
	ds_write_b32 v48, v0 offset:8
	v_mul_u32_u24_e32 v0, 3, v32
	v_pk_add_f16 v3, v1, v2 op_sel:[0,1] op_sel_hi:[1,0]
	v_pk_add_f16 v1, v1, v2 op_sel:[0,1] op_sel_hi:[1,0] neg_lo:[0,1] neg_hi:[0,1]
	v_lshlrev_b32_e32 v49, 2, v0
	v_pk_add_f16 v0, v14, v5
	v_bfi_b32 v2, s12, v3, v1
	v_lshrrev_b32_e32 v17, 16, v16
	ds_write2_b32 v49, v0, v2 offset1:1
	v_bfi_b32 v0, s12, v1, v3
	v_mul_u32_u24_e32 v50, 3, v28
	ds_write_b32 v49, v0 offset:8
	s_and_saveexec_b64 s[14:15], s[0:1]
	s_cbranch_execz .LBB0_7
; %bb.6:
	v_bfi_b32 v1, s12, v16, v18
	s_mov_b32 s12, 0x5040100
	v_lshlrev_b32_e32 v0, 2, v50
	v_perm_b32 v2, v17, v18, s12
	ds_write_b32 v0, v6
	ds_write2_b32 v0, v1, v2 offset0:1 offset1:2
.LBB0_7:
	s_or_b64 exec, exec, s[14:15]
	v_add_u32_e32 v2, 0xa00, v40
	v_add_u32_e32 v4, 0x1440, v40
	s_waitcnt lgkmcnt(0)
	s_barrier
	ds_read2_b32 v[0:1], v40 offset1:243
	ds_read2_b32 v[2:3], v2 offset0:8 offset1:251
	ds_read2_b32 v[4:5], v4 offset1:243
	s_and_saveexec_b64 s[14:15], s[0:1]
	s_cbranch_execz .LBB0_9
; %bb.8:
	ds_read_b32 v10, v40 offset:7128
	ds_read_b32 v16, v40 offset:4536
	;; [unrolled: 1-line block ×3, first 2 shown]
	s_mov_b32 s12, 0xffff
	s_waitcnt lgkmcnt(2)
	v_lshrrev_b32_e32 v17, 16, v10
	s_waitcnt lgkmcnt(1)
	v_bfi_b32 v18, s12, v10, v16
.LBB0_9:
	s_or_b64 exec, exec, s[14:15]
	s_movk_i32 s12, 0xab
	v_mul_lo_u16_sdwa v10, v45, s12 dst_sel:DWORD dst_unused:UNUSED_PAD src0_sel:BYTE_0 src1_sel:DWORD
	s_mov_b32 s12, 0xaaab
	v_mul_u32_u24_sdwa v11, v32, s12 dst_sel:DWORD dst_unused:UNUSED_PAD src0_sel:WORD_0 src1_sel:DWORD
	v_lshrrev_b16_e32 v19, 9, v10
	v_lshrrev_b32_e32 v21, 17, v11
	v_mul_lo_u16_e32 v10, 3, v19
	v_mul_lo_u16_e32 v11, 3, v21
	v_mul_u32_u24_sdwa v13, v28, s12 dst_sel:DWORD dst_unused:UNUSED_PAD src0_sel:WORD_0 src1_sel:DWORD
	v_sub_u16_e32 v10, v45, v10
	v_sub_u16_e32 v27, v32, v11
	v_lshrrev_b32_e32 v30, 17, v13
	v_and_b32_e32 v20, 0xff, v10
	v_lshlrev_b16_e32 v11, 1, v27
	v_mul_lo_u16_e32 v13, 3, v30
	v_lshlrev_b32_e32 v10, 3, v20
	v_lshlrev_b32_e32 v12, 2, v11
	v_sub_u16_e32 v31, v28, v13
	global_load_dwordx2 v[10:11], v10, s[4:5]
	s_waitcnt lgkmcnt(1)
	v_lshrrev_b32_e32 v22, 16, v2
	global_load_dwordx2 v[14:15], v12, s[4:5]
	v_lshlrev_b16_e32 v12, 1, v31
	v_lshlrev_b32_e32 v12, 2, v12
	global_load_dwordx2 v[12:13], v12, s[4:5]
	s_waitcnt lgkmcnt(0)
	v_lshrrev_b32_e32 v23, 16, v4
	v_mul_u32_u24_e32 v19, 9, v19
	v_add_lshl_u32 v51, v19, v20, 2
	v_lshrrev_b32_e32 v24, 16, v0
	v_lshrrev_b32_e32 v25, 16, v3
	;; [unrolled: 1-line block ×5, first 2 shown]
	s_movk_i32 s12, 0x3aee
	s_mov_b32 s14, 0xbaee
	s_waitcnt vmcnt(0)
	s_barrier
	v_mul_f16_sdwa v19, v22, v10 dst_sel:DWORD dst_unused:UNUSED_PAD src0_sel:DWORD src1_sel:WORD_1
	v_mul_f16_sdwa v20, v2, v10 dst_sel:DWORD dst_unused:UNUSED_PAD src0_sel:DWORD src1_sel:WORD_1
	v_mul_f16_sdwa v35, v4, v11 dst_sel:DWORD dst_unused:UNUSED_PAD src0_sel:DWORD src1_sel:WORD_1
	v_mul_f16_sdwa v36, v23, v11 dst_sel:DWORD dst_unused:UNUSED_PAD src0_sel:DWORD src1_sel:WORD_1
	v_mul_f16_sdwa v38, v3, v14 dst_sel:DWORD dst_unused:UNUSED_PAD src0_sel:DWORD src1_sel:WORD_1
	v_mul_f16_sdwa v52, v5, v15 dst_sel:DWORD dst_unused:UNUSED_PAD src0_sel:DWORD src1_sel:WORD_1
	v_mul_f16_sdwa v54, v16, v12 dst_sel:DWORD dst_unused:UNUSED_PAD src0_sel:DWORD src1_sel:WORD_1
	v_fma_f16 v20, v22, v10, v20
	v_fma_f16 v22, v23, v11, v35
	v_fma_f16 v2, v2, v10, -v19
	v_fma_f16 v4, v4, v11, -v36
	v_mul_f16_sdwa v37, v25, v14 dst_sel:DWORD dst_unused:UNUSED_PAD src0_sel:DWORD src1_sel:WORD_1
	v_mul_f16_sdwa v39, v26, v15 dst_sel:DWORD dst_unused:UNUSED_PAD src0_sel:DWORD src1_sel:WORD_1
	v_mul_f16_sdwa v53, v33, v12 dst_sel:DWORD dst_unused:UNUSED_PAD src0_sel:DWORD src1_sel:WORD_1
	v_fma_f16 v19, v25, v14, v38
	v_fma_f16 v23, v26, v15, v52
	v_fma_f16 v25, v33, v12, v54
	v_add_f16_e32 v26, v0, v2
	v_add_f16_e32 v33, v2, v4
	v_sub_f16_e32 v35, v20, v22
	v_add_f16_e32 v36, v24, v20
	v_add_f16_e32 v20, v20, v22
	v_mul_f16_sdwa v55, v17, v13 dst_sel:DWORD dst_unused:UNUSED_PAD src0_sel:DWORD src1_sel:WORD_1
	v_fma_f16 v3, v3, v14, -v37
	v_fma_f16 v5, v5, v15, -v39
	v_sub_f16_e32 v2, v2, v4
	v_sub_f16_e32 v39, v19, v23
	v_add_f16_e32 v52, v34, v19
	v_add_f16_e32 v19, v19, v23
	;; [unrolled: 1-line block ×4, first 2 shown]
	v_fma_f16 v20, v20, -0.5, v24
	v_fma_f16 v0, v33, -0.5, v0
	v_mul_f16_sdwa v56, v18, v13 dst_sel:DWORD dst_unused:UNUSED_PAD src0_sel:DWORD src1_sel:WORD_1
	v_fma_f16 v16, v16, v12, -v53
	v_fma_f16 v18, v18, v13, -v55
	v_add_f16_e32 v37, v3, v5
	v_add_f16_e32 v38, v1, v3
	v_sub_f16_e32 v3, v3, v5
	v_add_f16_e32 v33, v52, v23
	v_fma_f16 v19, v19, -0.5, v34
	v_pack_b32_f16 v4, v4, v22
	v_fma_f16 v22, v35, s12, v0
	v_fma_f16 v23, v2, s14, v20
	;; [unrolled: 1-line block ×3, first 2 shown]
	v_add_f16_e32 v53, v16, v18
	v_fma_f16 v34, v3, s14, v19
	v_fma_f16 v3, v3, s12, v19
	v_pack_b32_f16 v19, v22, v23
	v_fma_f16 v24, v53, -0.5, v6
	ds_write2_b32 v51, v4, v19 offset1:3
	v_sub_f16_e32 v4, v25, v17
	v_fma_f16 v0, v35, s14, v0
	v_fma_f16 v2, v2, s12, v20
	;; [unrolled: 1-line block ×4, first 2 shown]
	v_lshrrev_b32_e32 v4, 16, v6
	v_fma_f16 v1, v37, -0.5, v1
	v_add_f16_e32 v19, v4, v25
	v_pack_b32_f16 v0, v0, v2
	v_add_f16_e32 v5, v38, v5
	v_fma_f16 v20, v39, s12, v1
	v_add_f16_e32 v22, v19, v17
	v_add_f16_e32 v17, v25, v17
	ds_write_b32 v51, v0 offset:24
	v_mad_legacy_u16 v0, v21, 9, v27
	v_fma_f16 v1, v39, s14, v1
	v_fma_f16 v4, v17, -0.5, v4
	v_add_f16_e32 v6, v6, v16
	v_sub_f16_e32 v16, v16, v18
	v_lshlrev_b32_e32 v53, 2, v0
	v_pack_b32_f16 v0, v5, v33
	v_pack_b32_f16 v2, v20, v34
	v_add_f16_e32 v6, v6, v18
	v_fma_f16 v25, v16, s14, v4
	v_fma_f16 v26, v16, s12, v4
	ds_write2_b32 v53, v0, v2 offset1:3
	v_pack_b32_f16 v0, v1, v3
	v_mad_legacy_u16 v52, v30, 9, v31
	ds_write_b32 v53, v0 offset:24
	s_and_saveexec_b64 s[14:15], s[0:1]
	s_cbranch_execz .LBB0_11
; %bb.10:
	s_mov_b32 s12, 0x5040100
	v_lshlrev_b32_e32 v0, 2, v52
	v_perm_b32 v1, v22, v6, s12
	v_perm_b32 v2, v25, v23, s12
	ds_write2_b32 v0, v1, v2 offset1:3
	v_perm_b32 v1, v26, v24, s12
	ds_write_b32 v0, v1 offset:24
.LBB0_11:
	s_or_b64 exec, exec, s[14:15]
	v_add_u32_e32 v2, 0xa00, v40
	v_add_u32_e32 v4, 0x1440, v40
	s_waitcnt lgkmcnt(0)
	s_barrier
	ds_read2_b32 v[0:1], v40 offset1:243
	ds_read2_b32 v[2:3], v2 offset0:8 offset1:251
	ds_read2_b32 v[4:5], v4 offset1:243
	s_and_saveexec_b64 s[14:15], s[0:1]
	s_cbranch_execz .LBB0_13
; %bb.12:
	ds_read_b32 v6, v40 offset:1944
	ds_read_b32 v23, v40 offset:4536
	;; [unrolled: 1-line block ×3, first 2 shown]
	s_waitcnt lgkmcnt(2)
	v_lshrrev_b32_e32 v22, 16, v6
	s_waitcnt lgkmcnt(1)
	v_lshrrev_b32_e32 v25, 16, v23
	;; [unrolled: 2-line block ×3, first 2 shown]
.LBB0_13:
	s_or_b64 exec, exec, s[14:15]
	v_mov_b32_e32 v16, 57
	v_mul_lo_u16_sdwa v16, v45, v16 dst_sel:DWORD dst_unused:UNUSED_PAD src0_sel:BYTE_0 src1_sel:DWORD
	v_lshrrev_b16_e32 v27, 9, v16
	v_mul_lo_u16_e32 v16, 9, v27
	v_sub_u16_e32 v16, v45, v16
	s_mov_b32 s12, 0xe38f
	v_and_b32_e32 v36, 0xff, v16
	v_mul_u32_u24_sdwa v16, v32, s12 dst_sel:DWORD dst_unused:UNUSED_PAD src0_sel:WORD_0 src1_sel:DWORD
	v_lshrrev_b32_e32 v37, 19, v16
	v_mul_lo_u16_e32 v16, 9, v37
	v_sub_u16_e32 v38, v32, v16
	v_lshlrev_b16_e32 v16, 3, v38
	v_lshlrev_b32_e32 v30, 3, v36
	v_mov_b32_e32 v31, s5
	v_add_co_u32_e32 v20, vcc, s4, v16
	v_addc_co_u32_e32 v21, vcc, 0, v31, vcc
	global_load_dwordx2 v[18:19], v30, s[4:5] offset:24
	global_load_dwordx2 v[16:17], v[20:21], off offset:24
	v_mul_u32_u24_sdwa v20, v28, s12 dst_sel:DWORD dst_unused:UNUSED_PAD src0_sel:WORD_0 src1_sel:DWORD
	v_lshrrev_b32_e32 v39, 19, v20
	v_mul_lo_u16_e32 v20, 9, v39
	v_sub_u16_e32 v54, v28, v20
	v_lshlrev_b16_e32 v20, 3, v54
	v_add_co_u32_e32 v20, vcc, s4, v20
	v_addc_co_u32_e32 v21, vcc, 0, v31, vcc
	global_load_dwordx2 v[20:21], v[20:21], off offset:24
	s_waitcnt lgkmcnt(1)
	v_lshrrev_b32_e32 v31, 16, v2
	s_waitcnt lgkmcnt(0)
	v_lshrrev_b32_e32 v33, 16, v4
	v_lshrrev_b32_e32 v30, 16, v0
	;; [unrolled: 1-line block ×5, first 2 shown]
	s_movk_i32 s12, 0x3aee
	s_mov_b32 s14, 0xbaee
	s_waitcnt vmcnt(0)
	s_barrier
	v_mul_f16_sdwa v56, v31, v18 dst_sel:DWORD dst_unused:UNUSED_PAD src0_sel:DWORD src1_sel:WORD_1
	v_mul_f16_sdwa v57, v2, v18 dst_sel:DWORD dst_unused:UNUSED_PAD src0_sel:DWORD src1_sel:WORD_1
	v_mul_f16_sdwa v58, v33, v19 dst_sel:DWORD dst_unused:UNUSED_PAD src0_sel:DWORD src1_sel:WORD_1
	v_mul_f16_sdwa v59, v4, v19 dst_sel:DWORD dst_unused:UNUSED_PAD src0_sel:DWORD src1_sel:WORD_1
	v_mul_f16_sdwa v61, v3, v16 dst_sel:DWORD dst_unused:UNUSED_PAD src0_sel:DWORD src1_sel:WORD_1
	v_mul_f16_sdwa v63, v5, v17 dst_sel:DWORD dst_unused:UNUSED_PAD src0_sel:DWORD src1_sel:WORD_1
	v_fma_f16 v2, v2, v18, -v56
	v_fma_f16 v31, v31, v18, v57
	v_fma_f16 v4, v4, v19, -v58
	v_fma_f16 v33, v33, v19, v59
	v_mul_f16_sdwa v60, v35, v16 dst_sel:DWORD dst_unused:UNUSED_PAD src0_sel:DWORD src1_sel:WORD_1
	v_mul_f16_sdwa v62, v55, v17 dst_sel:DWORD dst_unused:UNUSED_PAD src0_sel:DWORD src1_sel:WORD_1
	;; [unrolled: 1-line block ×4, first 2 shown]
	v_fma_f16 v35, v35, v16, v61
	v_fma_f16 v55, v55, v17, v63
	v_add_f16_e32 v57, v2, v4
	v_sub_f16_e32 v58, v31, v33
	v_add_f16_e32 v59, v30, v31
	v_add_f16_e32 v31, v31, v33
	v_mul_f16_sdwa v65, v23, v20 dst_sel:DWORD dst_unused:UNUSED_PAD src0_sel:DWORD src1_sel:WORD_1
	v_mul_f16_sdwa v67, v24, v21 dst_sel:DWORD dst_unused:UNUSED_PAD src0_sel:DWORD src1_sel:WORD_1
	v_fma_f16 v3, v3, v16, -v60
	v_fma_f16 v5, v5, v17, -v62
	;; [unrolled: 1-line block ×4, first 2 shown]
	v_add_f16_e32 v56, v0, v2
	v_sub_f16_e32 v2, v2, v4
	v_sub_f16_e32 v62, v35, v55
	v_add_f16_e32 v63, v34, v35
	v_add_f16_e32 v35, v35, v55
	v_fma_f16 v0, v57, -0.5, v0
	v_fma_f16 v31, v31, -0.5, v30
	v_fma_f16 v25, v25, v20, v65
	v_fma_f16 v26, v26, v21, v67
	v_add_f16_e32 v60, v1, v3
	v_add_f16_e32 v61, v3, v5
	v_sub_f16_e32 v3, v3, v5
	v_add_f16_e32 v57, v59, v33
	v_fma_f16 v33, v35, -0.5, v34
	v_fma_f16 v59, v58, s12, v0
	v_fma_f16 v0, v58, s14, v0
	;; [unrolled: 1-line block ×4, first 2 shown]
	v_add_f16_e32 v31, v23, v24
	v_add_f16_e32 v64, v6, v23
	v_fma_f16 v1, v61, -0.5, v1
	v_fma_f16 v61, v3, s14, v33
	v_fma_f16 v3, v3, s12, v33
	v_fma_f16 v6, v31, -0.5, v6
	v_sub_f16_e32 v33, v25, v26
	v_fma_f16 v31, v33, s12, v6
	v_fma_f16 v33, v33, s14, v6
	v_add_f16_e32 v6, v22, v25
	v_add_f16_e32 v25, v25, v26
	v_fma_f16 v22, v25, -0.5, v22
	v_sub_f16_e32 v23, v23, v24
	v_fma_f16 v34, v23, s14, v22
	v_fma_f16 v35, v23, s12, v22
	v_mul_u32_u24_e32 v22, 27, v27
	v_add_f16_e32 v4, v56, v4
	v_add_lshl_u32 v56, v22, v36, 2
	v_pack_b32_f16 v0, v0, v2
	v_add_f16_e32 v5, v60, v5
	v_add_f16_e32 v55, v63, v55
	v_fma_f16 v60, v62, s12, v1
	ds_write_b32 v56, v0 offset:72
	v_mad_legacy_u16 v0, v37, 27, v38
	v_fma_f16 v1, v62, s14, v1
	v_pack_b32_f16 v4, v4, v57
	v_pack_b32_f16 v22, v59, v58
	v_lshlrev_b32_e32 v58, 2, v0
	v_pack_b32_f16 v0, v5, v55
	v_pack_b32_f16 v2, v60, v61
	v_add_f16_e32 v30, v64, v24
	v_add_f16_e32 v6, v6, v26
	ds_write2_b32 v56, v4, v22 offset1:9
	ds_write2_b32 v58, v0, v2 offset1:9
	v_pack_b32_f16 v0, v1, v3
	v_mad_legacy_u16 v57, v39, 27, v54
	ds_write_b32 v58, v0 offset:72
	s_and_saveexec_b64 s[14:15], s[0:1]
	s_cbranch_execz .LBB0_15
; %bb.14:
	s_mov_b32 s12, 0x5040100
	v_lshlrev_b32_e32 v0, 2, v57
	v_perm_b32 v1, v6, v30, s12
	v_perm_b32 v2, v34, v31, s12
	ds_write2_b32 v0, v1, v2 offset1:9
	v_perm_b32 v1, v35, v33, s12
	ds_write_b32 v0, v1 offset:72
.LBB0_15:
	s_or_b64 exec, exec, s[14:15]
	v_add_u32_e32 v2, 0xa00, v40
	v_add_u32_e32 v4, 0x1440, v40
	s_waitcnt lgkmcnt(0)
	s_barrier
	ds_read2_b32 v[0:1], v40 offset1:243
	ds_read2_b32 v[2:3], v2 offset0:8 offset1:251
	ds_read2_b32 v[4:5], v4 offset1:243
	s_and_saveexec_b64 s[14:15], s[0:1]
	s_cbranch_execz .LBB0_17
; %bb.16:
	ds_read_b32 v30, v40 offset:1944
	ds_read_b32 v31, v40 offset:4536
	;; [unrolled: 1-line block ×3, first 2 shown]
	s_waitcnt lgkmcnt(2)
	v_lshrrev_b32_e32 v6, 16, v30
	s_waitcnt lgkmcnt(1)
	v_lshrrev_b32_e32 v34, 16, v31
	;; [unrolled: 2-line block ×3, first 2 shown]
.LBB0_17:
	s_or_b64 exec, exec, s[14:15]
	s_movk_i32 s12, 0x2f69
	v_mul_u32_u24_sdwa v24, v32, s12 dst_sel:DWORD dst_unused:UNUSED_PAD src0_sel:WORD_0 src1_sel:DWORD
	v_mov_b32_e32 v22, 19
	v_sub_u16_sdwa v25, v32, v24 dst_sel:DWORD dst_unused:UNUSED_PAD src0_sel:DWORD src1_sel:WORD_1
	v_mul_lo_u16_sdwa v22, v45, v22 dst_sel:DWORD dst_unused:UNUSED_PAD src0_sel:BYTE_0 src1_sel:DWORD
	v_lshrrev_b16_e32 v25, 1, v25
	v_mul_u32_u24_sdwa v26, v28, s12 dst_sel:DWORD dst_unused:UNUSED_PAD src0_sel:WORD_0 src1_sel:DWORD
	v_lshrrev_b16_e32 v36, 9, v22
	v_add_u16_sdwa v24, v25, v24 dst_sel:DWORD dst_unused:UNUSED_PAD src0_sel:DWORD src1_sel:WORD_1
	v_sub_u16_sdwa v54, v28, v26 dst_sel:DWORD dst_unused:UNUSED_PAD src0_sel:DWORD src1_sel:WORD_1
	v_mul_lo_u16_e32 v22, 27, v36
	v_lshrrev_b16_e32 v38, 4, v24
	v_lshrrev_b16_e32 v54, 1, v54
	v_sub_u16_e32 v22, v45, v22
	v_mul_lo_u16_e32 v24, 27, v38
	v_add_u16_sdwa v26, v54, v26 dst_sel:DWORD dst_unused:UNUSED_PAD src0_sel:DWORD src1_sel:WORD_1
	v_and_b32_e32 v37, 0xff, v22
	v_sub_u16_e32 v39, v32, v24
	v_lshrrev_b16_e32 v54, 4, v26
	v_lshlrev_b32_e32 v22, 3, v37
	v_lshlrev_b16_e32 v24, 3, v39
	v_mul_lo_u16_e32 v26, 27, v54
	global_load_dwordx2 v[22:23], v22, s[4:5] offset:96
	v_mov_b32_e32 v27, s5
	v_add_co_u32_e32 v24, vcc, s4, v24
	v_sub_u16_e32 v55, v28, v26
	v_addc_co_u32_e32 v25, vcc, 0, v27, vcc
	global_load_dwordx2 v[24:25], v[24:25], off offset:96
	v_lshlrev_b16_e32 v26, 3, v55
	v_add_co_u32_e32 v26, vcc, s4, v26
	v_addc_co_u32_e32 v27, vcc, 0, v27, vcc
	global_load_dwordx2 v[26:27], v[26:27], off offset:96
	s_waitcnt lgkmcnt(1)
	v_lshrrev_b32_e32 v60, 16, v2
	s_waitcnt lgkmcnt(0)
	v_lshrrev_b32_e32 v61, 16, v4
	v_lshrrev_b32_e32 v59, 16, v0
	;; [unrolled: 1-line block ×5, first 2 shown]
	s_movk_i32 s12, 0x3aee
	s_mov_b32 s14, 0xbaee
	v_mul_u32_u24_e32 v36, 0x51, v36
	s_waitcnt vmcnt(0)
	s_barrier
	v_mul_f16_sdwa v65, v60, v22 dst_sel:DWORD dst_unused:UNUSED_PAD src0_sel:DWORD src1_sel:WORD_1
	v_mul_f16_sdwa v66, v2, v22 dst_sel:DWORD dst_unused:UNUSED_PAD src0_sel:DWORD src1_sel:WORD_1
	;; [unrolled: 1-line block ×4, first 2 shown]
	v_fma_f16 v2, v2, v22, -v65
	v_fma_f16 v60, v60, v22, v66
	v_fma_f16 v61, v61, v23, v68
	v_fma_f16 v4, v4, v23, -v67
	v_add_f16_e32 v65, v0, v2
	v_sub_f16_e32 v67, v60, v61
	v_add_f16_e32 v68, v59, v60
	v_add_f16_e32 v60, v60, v61
	v_add_f16_e32 v66, v2, v4
	v_sub_f16_e32 v2, v2, v4
	v_add_f16_e32 v65, v65, v4
	v_add_f16_e32 v61, v68, v61
	v_fma_f16 v4, v60, -0.5, v59
	v_mul_f16_sdwa v59, v63, v24 dst_sel:DWORD dst_unused:UNUSED_PAD src0_sel:DWORD src1_sel:WORD_1
	v_mul_f16_sdwa v60, v3, v24 dst_sel:DWORD dst_unused:UNUSED_PAD src0_sel:DWORD src1_sel:WORD_1
	;; [unrolled: 1-line block ×3, first 2 shown]
	v_fma_f16 v0, v66, -0.5, v0
	v_mul_f16_sdwa v66, v64, v25 dst_sel:DWORD dst_unused:UNUSED_PAD src0_sel:DWORD src1_sel:WORD_1
	v_mul_f16_sdwa v69, v34, v26 dst_sel:DWORD dst_unused:UNUSED_PAD src0_sel:DWORD src1_sel:WORD_1
	;; [unrolled: 1-line block ×4, first 2 shown]
	v_fma_f16 v59, v3, v24, -v59
	v_fma_f16 v60, v63, v24, v60
	v_fma_f16 v63, v64, v25, v68
	v_mul_f16_sdwa v71, v35, v27 dst_sel:DWORD dst_unused:UNUSED_PAD src0_sel:DWORD src1_sel:WORD_1
	v_fma_f16 v73, v67, s12, v0
	v_fma_f16 v67, v67, s14, v0
	;; [unrolled: 1-line block ×4, first 2 shown]
	v_fma_f16 v5, v5, v25, -v66
	v_fma_f16 v0, v31, v26, -v69
	v_fma_f16 v3, v34, v26, v70
	v_fma_f16 v4, v35, v27, v72
	v_add_f16_e32 v31, v1, v59
	v_sub_f16_e32 v34, v60, v63
	v_add_f16_e32 v35, v62, v60
	v_add_f16_e32 v60, v60, v63
	v_fma_f16 v2, v33, v27, -v71
	v_add_f16_e32 v33, v59, v5
	v_sub_f16_e32 v59, v59, v5
	v_add_f16_e32 v64, v31, v5
	v_fma_f16 v5, v60, -0.5, v62
	v_add_f16_e32 v31, v3, v4
	v_fma_f16 v1, v33, -0.5, v1
	v_fma_f16 v68, v59, s14, v5
	v_fma_f16 v69, v59, s12, v5
	v_fma_f16 v31, v31, -0.5, v6
	v_sub_f16_e32 v33, v0, v2
	v_add_lshl_u32 v59, v36, v37, 2
	v_pack_b32_f16 v36, v65, v61
	v_pack_b32_f16 v37, v73, v74
	v_add_f16_e32 v35, v35, v63
	v_fma_f16 v66, v34, s12, v1
	v_fma_f16 v34, v34, s14, v1
	v_add_f16_e32 v1, v0, v2
	v_fma_f16 v63, v33, s12, v31
	s_movk_i32 s12, 0x51
	ds_write2_b32 v59, v36, v37 offset1:27
	v_pack_b32_f16 v36, v67, v75
	v_fma_f16 v1, v1, -0.5, v30
	v_sub_f16_e32 v5, v3, v4
	ds_write_b32 v59, v36 offset:216
	v_mad_legacy_u16 v36, v38, s12, v39
	v_fma_f16 v62, v5, s14, v1
	v_lshlrev_b32_e32 v60, 2, v36
	v_pack_b32_f16 v35, v64, v35
	v_pack_b32_f16 v36, v66, v68
	;; [unrolled: 1-line block ×3, first 2 shown]
	ds_write2_b32 v60, v35, v36 offset1:27
	ds_write_b32 v60, v34 offset:216
	s_and_saveexec_b64 s[14:15], s[0:1]
	s_cbranch_execz .LBB0_19
; %bb.18:
	v_mul_f16_e32 v5, 0x3aee, v5
	v_mul_f16_e32 v33, 0x3aee, v33
	v_add_f16_e32 v3, v6, v3
	v_add_f16_e32 v0, v30, v0
	v_sub_f16_e32 v31, v31, v33
	v_add_f16_e32 v1, v5, v1
	v_add_f16_e32 v3, v3, v4
	;; [unrolled: 1-line block ×3, first 2 shown]
	v_mad_legacy_u16 v2, v54, s12, v55
	v_lshlrev_b32_e32 v2, 2, v2
	v_pack_b32_f16 v0, v0, v3
	v_pack_b32_f16 v1, v1, v31
	s_mov_b32 s12, 0x5040100
	ds_write2_b32 v2, v0, v1 offset1:27
	v_perm_b32 v0, v63, v62, s12
	ds_write_b32 v2, v0 offset:216
.LBB0_19:
	s_or_b64 exec, exec, s[14:15]
	v_add_u32_e32 v0, 0x780, v40
	s_waitcnt lgkmcnt(0)
	s_barrier
	ds_read2_b32 v[4:5], v0 offset0:6 offset1:249
	v_add_u32_e32 v0, 0xf00, v40
	ds_read2_b32 v[33:34], v0 offset0:12 offset1:255
	v_add_u32_e32 v0, 0x16c0, v40
	s_movk_i32 s12, 0xcb
	ds_read2_b32 v[35:36], v0 offset0:2 offset1:245
	v_mul_lo_u16_sdwa v0, v45, s12 dst_sel:DWORD dst_unused:UNUSED_PAD src0_sel:BYTE_0 src1_sel:DWORD
	v_lshrrev_b16_e32 v69, 14, v0
	v_mul_lo_u16_e32 v0, 0x51, v69
	v_sub_u16_e32 v0, v45, v0
	v_and_b32_e32 v70, 0xff, v0
	v_mad_u64_u32 v[37:38], s[14:15], v70, 28, s[4:5]
	ds_read2_b32 v[30:31], v40 offset1:243
	s_waitcnt lgkmcnt(3)
	v_lshrrev_b32_e32 v61, 16, v4
	global_load_dwordx4 v[0:3], v[37:38], off offset:312
	v_lshrrev_b32_e32 v64, 16, v5
	s_waitcnt lgkmcnt(2)
	v_lshrrev_b32_e32 v65, 16, v33
	s_waitcnt lgkmcnt(0)
	v_lshrrev_b32_e32 v6, 16, v31
	v_lshrrev_b32_e32 v66, 16, v34
	;; [unrolled: 1-line block ×5, first 2 shown]
	s_mov_b32 s12, 0xb9a8
	s_movk_i32 s14, 0x39a8
	s_waitcnt vmcnt(0)
	v_mul_f16_sdwa v71, v6, v0 dst_sel:DWORD dst_unused:UNUSED_PAD src0_sel:DWORD src1_sel:WORD_1
	v_fma_f16 v71, v31, v0, -v71
	v_mul_f16_sdwa v31, v31, v0 dst_sel:DWORD dst_unused:UNUSED_PAD src0_sel:DWORD src1_sel:WORD_1
	v_fma_f16 v31, v6, v0, v31
	v_mul_f16_sdwa v6, v61, v1 dst_sel:DWORD dst_unused:UNUSED_PAD src0_sel:DWORD src1_sel:WORD_1
	v_fma_f16 v72, v4, v1, -v6
	v_mul_f16_sdwa v4, v4, v1 dst_sel:DWORD dst_unused:UNUSED_PAD src0_sel:DWORD src1_sel:WORD_1
	v_fma_f16 v61, v61, v1, v4
	;; [unrolled: 4-line block ×4, first 2 shown]
	global_load_dwordx3 v[4:6], v[37:38], off offset:328
	v_sub_f16_e32 v33, v39, v33
	v_fma_f16 v39, v39, 2.0, -v33
	s_waitcnt vmcnt(0)
	s_barrier
	v_mul_f16_sdwa v37, v66, v4 dst_sel:DWORD dst_unused:UNUSED_PAD src0_sel:DWORD src1_sel:WORD_1
	v_mul_f16_sdwa v38, v67, v5 dst_sel:DWORD dst_unused:UNUSED_PAD src0_sel:DWORD src1_sel:WORD_1
	;; [unrolled: 1-line block ×3, first 2 shown]
	v_fma_f16 v37, v34, v4, -v37
	v_mul_f16_sdwa v34, v34, v4 dst_sel:DWORD dst_unused:UNUSED_PAD src0_sel:DWORD src1_sel:WORD_1
	v_fma_f16 v38, v35, v5, -v38
	v_mul_f16_sdwa v35, v35, v5 dst_sel:DWORD dst_unused:UNUSED_PAD src0_sel:DWORD src1_sel:WORD_1
	;; [unrolled: 2-line block ×3, first 2 shown]
	v_fma_f16 v34, v66, v4, v34
	v_fma_f16 v35, v67, v5, v35
	;; [unrolled: 1-line block ×3, first 2 shown]
	v_sub_f16_e32 v66, v30, v74
	v_sub_f16_e32 v38, v72, v38
	;; [unrolled: 1-line block ×6, first 2 shown]
	v_fma_f16 v30, v30, 2.0, -v66
	v_fma_f16 v67, v72, 2.0, -v38
	;; [unrolled: 1-line block ×4, first 2 shown]
	v_sub_f16_e32 v65, v73, v65
	v_fma_f16 v64, v64, 2.0, -v36
	v_sub_f16_e32 v35, v66, v35
	v_sub_f16_e32 v36, v37, v36
	v_fma_f16 v68, v71, 2.0, -v37
	v_fma_f16 v71, v73, 2.0, -v65
	v_sub_f16_e32 v67, v30, v67
	v_add_f16_e32 v38, v33, v38
	v_fma_f16 v66, v66, 2.0, -v35
	v_sub_f16_e32 v64, v31, v64
	v_add_f16_e32 v72, v34, v65
	v_fma_f16 v37, v37, 2.0, -v36
	v_sub_f16_e32 v61, v39, v61
	v_fma_f16 v33, v33, 2.0, -v38
	v_sub_f16_e32 v71, v68, v71
	v_fma_f16 v31, v31, 2.0, -v64
	v_fma_f16 v34, v34, 2.0, -v72
	v_fma_f16 v65, v37, s12, v66
	v_sub_f16_e32 v64, v67, v64
	v_fma_f16 v30, v30, 2.0, -v67
	v_fma_f16 v39, v39, 2.0, -v61
	;; [unrolled: 1-line block ×3, first 2 shown]
	v_fma_f16 v73, v34, s12, v33
	v_fma_f16 v34, v34, s12, v65
	v_add_f16_e32 v65, v61, v71
	v_fma_f16 v71, v67, 2.0, -v64
	v_fma_f16 v67, v72, s14, v38
	v_sub_f16_e32 v68, v30, v68
	v_sub_f16_e32 v31, v39, v31
	v_fma_f16 v37, v37, s14, v73
	v_fma_f16 v74, v61, 2.0, -v65
	v_fma_f16 v61, v36, s14, v35
	v_fma_f16 v67, v36, s14, v67
	v_fma_f16 v30, v30, 2.0, -v68
	v_fma_f16 v39, v39, 2.0, -v31
	;; [unrolled: 1-line block ×4, first 2 shown]
	v_fma_f16 v66, v72, s12, v61
	v_fma_f16 v36, v38, 2.0, -v67
	v_mul_u32_u24_e32 v38, 0x288, v69
	v_fma_f16 v35, v35, 2.0, -v66
	v_add_lshl_u32 v61, v38, v70, 2
	v_pack_b32_f16 v30, v30, v39
	v_pack_b32_f16 v33, v73, v33
	ds_write2_b32 v61, v30, v33 offset1:81
	v_pack_b32_f16 v30, v71, v74
	v_pack_b32_f16 v33, v35, v36
	ds_write2_b32 v61, v30, v33 offset0:162 offset1:243
	v_pack_b32_f16 v30, v68, v31
	v_pack_b32_f16 v31, v34, v37
	v_add_u32_e32 v33, 0x400, v61
	ds_write2_b32 v33, v30, v31 offset0:68 offset1:149
	v_pack_b32_f16 v30, v64, v65
	v_pack_b32_f16 v31, v66, v67
	v_add_u32_e32 v33, 0x600, v61
	ds_write2_b32 v33, v30, v31 offset0:102 offset1:183
	v_add_u32_e32 v30, 0xa00, v40
	s_waitcnt lgkmcnt(0)
	s_barrier
	ds_read2_b32 v[36:37], v30 offset0:8 offset1:251
	v_add_u32_e32 v30, 0x1440, v40
	ds_read2_b32 v[34:35], v40 offset1:243
	ds_read2_b32 v[38:39], v30 offset1:243
	s_and_saveexec_b64 s[14:15], s[0:1]
	s_cbranch_execz .LBB0_21
; %bb.20:
	ds_read_b32 v64, v40 offset:1944
	ds_read_b32 v66, v40 offset:4536
	;; [unrolled: 1-line block ×3, first 2 shown]
	s_waitcnt lgkmcnt(2)
	v_lshrrev_b32_e32 v65, 16, v64
	s_waitcnt lgkmcnt(1)
	v_lshrrev_b32_e32 v67, 16, v66
	;; [unrolled: 2-line block ×3, first 2 shown]
.LBB0_21:
	s_or_b64 exec, exec, s[14:15]
	s_movk_i32 s12, 0xff5e
	v_add_co_u32_e32 v69, vcc, s12, v45
	v_addc_co_u32_e64 v70, s[14:15], 0, -1, vcc
	v_lshlrev_b32_e32 v30, 3, v45
	v_lshlrev_b32_e32 v32, 3, v32
	v_cndmask_b32_e64 v29, v70, v29, s[0:1]
	v_cndmask_b32_e64 v28, v69, v28, s[0:1]
	global_load_dwordx2 v[30:31], v30, s[4:5] offset:2580
	v_lshlrev_b64 v[28:29], 3, v[28:29]
	global_load_dwordx2 v[32:33], v32, s[4:5] offset:2580
	v_mov_b32_e32 v68, s5
	v_add_co_u32_e32 v28, vcc, s4, v28
	v_addc_co_u32_e32 v29, vcc, v68, v29, vcc
	global_load_dwordx2 v[28:29], v[28:29], off offset:2580
	s_waitcnt lgkmcnt(2)
	v_lshrrev_b32_e32 v69, 16, v36
	s_waitcnt lgkmcnt(0)
	v_lshrrev_b32_e32 v70, 16, v38
	v_lshrrev_b32_e32 v72, 16, v37
	;; [unrolled: 1-line block ×5, first 2 shown]
	s_movk_i32 s4, 0x3aee
	s_mov_b32 s5, 0xbaee
	s_waitcnt vmcnt(2)
	v_mul_f16_sdwa v74, v69, v30 dst_sel:DWORD dst_unused:UNUSED_PAD src0_sel:DWORD src1_sel:WORD_1
	v_mul_f16_sdwa v75, v36, v30 dst_sel:DWORD dst_unused:UNUSED_PAD src0_sel:DWORD src1_sel:WORD_1
	;; [unrolled: 1-line block ×4, first 2 shown]
	s_waitcnt vmcnt(1)
	v_mul_f16_sdwa v79, v37, v32 dst_sel:DWORD dst_unused:UNUSED_PAD src0_sel:DWORD src1_sel:WORD_1
	v_mul_f16_sdwa v81, v39, v33 dst_sel:DWORD dst_unused:UNUSED_PAD src0_sel:DWORD src1_sel:WORD_1
	v_mul_f16_sdwa v78, v72, v32 dst_sel:DWORD dst_unused:UNUSED_PAD src0_sel:DWORD src1_sel:WORD_1
	v_mul_f16_sdwa v80, v73, v33 dst_sel:DWORD dst_unused:UNUSED_PAD src0_sel:DWORD src1_sel:WORD_1
	v_fma_f16 v36, v36, v30, -v74
	v_fma_f16 v69, v69, v30, v75
	v_fma_f16 v38, v38, v31, -v76
	v_fma_f16 v70, v70, v31, v77
	v_fma_f16 v72, v72, v32, v79
	v_fma_f16 v73, v73, v33, v81
	v_fma_f16 v37, v37, v32, -v78
	v_fma_f16 v39, v39, v33, -v80
	v_add_f16_e32 v75, v36, v38
	v_sub_f16_e32 v76, v69, v70
	v_add_f16_e32 v77, v68, v69
	v_add_f16_e32 v69, v69, v70
	v_sub_f16_e32 v80, v72, v73
	v_add_f16_e32 v81, v71, v72
	v_add_f16_e32 v72, v72, v73
	;; [unrolled: 1-line block ×3, first 2 shown]
	v_sub_f16_e32 v36, v36, v38
	v_add_f16_e32 v78, v35, v37
	v_add_f16_e32 v79, v37, v39
	v_sub_f16_e32 v37, v37, v39
	v_fma_f16 v34, v75, -0.5, v34
	v_fma_f16 v68, v69, -0.5, v68
	;; [unrolled: 1-line block ×3, first 2 shown]
	v_add_f16_e32 v38, v74, v38
	v_add_f16_e32 v70, v77, v70
	;; [unrolled: 1-line block ×3, first 2 shown]
	v_fma_f16 v72, v76, s4, v34
	v_fma_f16 v34, v76, s5, v34
	;; [unrolled: 1-line block ×6, first 2 shown]
	s_waitcnt vmcnt(0)
	v_mul_f16_sdwa v71, v67, v28 dst_sel:DWORD dst_unused:UNUSED_PAD src0_sel:DWORD src1_sel:WORD_1
	v_mul_f16_sdwa v75, v66, v28 dst_sel:DWORD dst_unused:UNUSED_PAD src0_sel:DWORD src1_sel:WORD_1
	v_mul_f16_sdwa v76, v63, v29 dst_sel:DWORD dst_unused:UNUSED_PAD src0_sel:DWORD src1_sel:WORD_1
	v_mul_f16_sdwa v77, v62, v29 dst_sel:DWORD dst_unused:UNUSED_PAD src0_sel:DWORD src1_sel:WORD_1
	v_add_f16_e32 v39, v78, v39
	v_fma_f16 v35, v79, -0.5, v35
	v_fma_f16 v66, v66, v28, -v71
	v_fma_f16 v67, v67, v28, v75
	v_fma_f16 v62, v62, v29, -v76
	v_fma_f16 v71, v63, v29, v77
	v_pack_b32_f16 v34, v34, v36
	v_fma_f16 v68, v80, s4, v35
	v_add_f16_e32 v75, v66, v62
	v_sub_f16_e32 v76, v67, v71
	v_add_f16_e32 v77, v65, v67
	v_add_f16_e32 v67, v67, v71
	v_pack_b32_f16 v38, v38, v70
	v_pack_b32_f16 v70, v72, v73
	ds_write_b32 v40, v34 offset:5184
	v_pack_b32_f16 v34, v39, v69
	v_fma_f16 v35, v80, s5, v35
	v_add_f16_e32 v63, v64, v66
	v_sub_f16_e32 v78, v66, v62
	v_fma_f16 v66, v75, -0.5, v64
	v_fma_f16 v67, v67, -0.5, v65
	ds_write_b32 v40, v70 offset:2592
	ds_write2_b32 v40, v38, v34 offset1:243
	v_pack_b32_f16 v34, v68, v74
	v_add_f16_e32 v63, v63, v62
	v_add_f16_e32 v64, v77, v71
	v_fma_f16 v62, v76, s4, v66
	v_fma_f16 v65, v76, s5, v66
	;; [unrolled: 1-line block ×4, first 2 shown]
	ds_write_b32 v40, v34 offset:3564
	v_pack_b32_f16 v34, v35, v37
	ds_write_b32 v40, v34 offset:6156
	s_and_saveexec_b64 s[4:5], s[0:1]
	s_cbranch_execz .LBB0_23
; %bb.22:
	s_mov_b32 s12, 0x5040100
	v_perm_b32 v34, v64, v63, s12
	ds_write_b32 v40, v34 offset:1944
	v_perm_b32 v34, v66, v62, s12
	ds_write_b32 v40, v34 offset:4536
	v_perm_b32 v34, v67, v65, s12
	ds_write_b32 v40, v34 offset:7128
.LBB0_23:
	s_or_b64 exec, exec, s[4:5]
	v_mov_b32_e32 v34, s13
	v_addc_co_u32_e64 v39, vcc, 0, v34, s[2:3]
	v_add_co_u32_e32 v34, vcc, 0x1e60, v7
	v_addc_co_u32_e32 v35, vcc, 0, v39, vcc
	v_add_co_u32_e32 v36, vcc, 0x1000, v7
	v_addc_co_u32_e32 v37, vcc, 0, v39, vcc
	s_movk_i32 s2, 0x3000
	v_add_co_u32_e32 v38, vcc, s2, v7
	v_addc_co_u32_e32 v39, vcc, 0, v39, vcc
	s_waitcnt lgkmcnt(0)
	s_barrier
	global_load_dword v72, v[38:39], off offset:672
	global_load_dword v73, v[38:39], off offset:1644
	;; [unrolled: 1-line block ×6, first 2 shown]
	ds_read2_b32 v[68:69], v40 offset1:243
	v_add_u32_e32 v36, 0xa00, v40
	v_add_u32_e32 v38, 0x1440, v40
	s_waitcnt lgkmcnt(0)
	v_lshrrev_b32_e32 v37, 16, v68
	v_lshrrev_b32_e32 v39, 16, v69
	s_waitcnt vmcnt(3)
	v_mul_f16_sdwa v76, v37, v70 dst_sel:DWORD dst_unused:UNUSED_PAD src0_sel:DWORD src1_sel:WORD_1
	v_mul_f16_sdwa v77, v68, v70 dst_sel:DWORD dst_unused:UNUSED_PAD src0_sel:DWORD src1_sel:WORD_1
	v_fma_f16 v68, v68, v70, -v76
	v_fma_f16 v37, v37, v70, v77
	v_pack_b32_f16 v37, v68, v37
	s_waitcnt vmcnt(1)
	v_mul_f16_sdwa v78, v39, v71 dst_sel:DWORD dst_unused:UNUSED_PAD src0_sel:DWORD src1_sel:WORD_1
	v_mul_f16_sdwa v79, v69, v71 dst_sel:DWORD dst_unused:UNUSED_PAD src0_sel:DWORD src1_sel:WORD_1
	ds_write_b32 v40, v37
	v_fma_f16 v76, v69, v71, -v78
	ds_read2_b32 v[68:69], v36 offset0:8 offset1:251
	v_fma_f16 v37, v39, v71, v79
	ds_read2_b32 v[70:71], v38 offset1:243
	v_pack_b32_f16 v37, v76, v37
	ds_write_b32 v40, v37 offset:972
	s_waitcnt lgkmcnt(2)
	v_lshrrev_b32_e32 v37, 16, v68
	s_waitcnt vmcnt(0)
	v_mul_f16_sdwa v39, v68, v75 dst_sel:DWORD dst_unused:UNUSED_PAD src0_sel:DWORD src1_sel:WORD_1
	s_waitcnt lgkmcnt(1)
	v_lshrrev_b32_e32 v76, 16, v70
	v_mul_f16_sdwa v77, v70, v72 dst_sel:DWORD dst_unused:UNUSED_PAD src0_sel:DWORD src1_sel:WORD_1
	v_lshrrev_b32_e32 v78, 16, v69
	v_mul_f16_sdwa v79, v69, v74 dst_sel:DWORD dst_unused:UNUSED_PAD src0_sel:DWORD src1_sel:WORD_1
	;; [unrolled: 2-line block ×3, first 2 shown]
	v_fma_f16 v37, v37, v75, v39
	v_mul_f16_sdwa v39, v76, v72 dst_sel:DWORD dst_unused:UNUSED_PAD src0_sel:DWORD src1_sel:WORD_1
	v_fma_f16 v76, v76, v72, v77
	v_mul_f16_sdwa v77, v78, v74 dst_sel:DWORD dst_unused:UNUSED_PAD src0_sel:DWORD src1_sel:WORD_1
	v_mul_f16_sdwa v81, v71, v73 dst_sel:DWORD dst_unused:UNUSED_PAD src0_sel:DWORD src1_sel:WORD_1
	v_fma_f16 v78, v78, v74, v79
	v_mul_f16_sdwa v79, v80, v73 dst_sel:DWORD dst_unused:UNUSED_PAD src0_sel:DWORD src1_sel:WORD_1
	v_fma_f16 v68, v68, v75, -v82
	v_fma_f16 v69, v69, v74, -v77
	v_fma_f16 v80, v80, v73, v81
	v_fma_f16 v39, v70, v72, -v39
	v_fma_f16 v70, v71, v73, -v79
	v_pack_b32_f16 v37, v68, v37
	v_pack_b32_f16 v68, v69, v78
	v_pack_b32_f16 v39, v39, v76
	v_pack_b32_f16 v69, v70, v80
	ds_write2_b32 v36, v37, v68 offset0:8 offset1:251
	ds_write2_b32 v38, v39, v69 offset1:243
	s_and_saveexec_b64 s[2:3], s[0:1]
	s_cbranch_execz .LBB0_25
; %bb.24:
	global_load_dword v37, v[34:35], off offset:1944
	v_add_co_u32_e32 v34, vcc, 0x1000, v34
	v_addc_co_u32_e32 v35, vcc, 0, v35, vcc
	global_load_dword v39, v[34:35], off offset:440
	global_load_dword v68, v[34:35], off offset:3032
	ds_read_b32 v34, v40 offset:1944
	ds_read_b32 v35, v40 offset:4536
	ds_read_b32 v69, v40 offset:7128
	s_waitcnt lgkmcnt(2)
	v_lshrrev_b32_e32 v70, 16, v34
	s_waitcnt lgkmcnt(1)
	v_lshrrev_b32_e32 v71, 16, v35
	;; [unrolled: 2-line block ×3, first 2 shown]
	s_waitcnt vmcnt(2)
	v_mul_f16_sdwa v73, v70, v37 dst_sel:DWORD dst_unused:UNUSED_PAD src0_sel:DWORD src1_sel:WORD_1
	v_mul_f16_sdwa v74, v34, v37 dst_sel:DWORD dst_unused:UNUSED_PAD src0_sel:DWORD src1_sel:WORD_1
	v_fma_f16 v34, v34, v37, -v73
	v_fma_f16 v37, v70, v37, v74
	v_pack_b32_f16 v34, v34, v37
	s_waitcnt vmcnt(1)
	v_mul_f16_sdwa v37, v71, v39 dst_sel:DWORD dst_unused:UNUSED_PAD src0_sel:DWORD src1_sel:WORD_1
	v_mul_f16_sdwa v70, v35, v39 dst_sel:DWORD dst_unused:UNUSED_PAD src0_sel:DWORD src1_sel:WORD_1
	s_waitcnt vmcnt(0)
	v_mul_f16_sdwa v73, v72, v68 dst_sel:DWORD dst_unused:UNUSED_PAD src0_sel:DWORD src1_sel:WORD_1
	v_mul_f16_sdwa v74, v69, v68 dst_sel:DWORD dst_unused:UNUSED_PAD src0_sel:DWORD src1_sel:WORD_1
	ds_write_b32 v40, v34 offset:1944
	v_fma_f16 v34, v35, v39, -v37
	v_fma_f16 v35, v71, v39, v70
	v_fma_f16 v37, v69, v68, -v73
	v_fma_f16 v39, v72, v68, v74
	v_pack_b32_f16 v34, v34, v35
	v_pack_b32_f16 v35, v37, v39
	ds_write_b32 v40, v34 offset:4536
	ds_write_b32 v40, v35 offset:7128
.LBB0_25:
	s_or_b64 exec, exec, s[2:3]
	s_waitcnt lgkmcnt(0)
	s_barrier
	ds_read2_b32 v[34:35], v40 offset1:243
	ds_read2_b32 v[36:37], v36 offset0:8 offset1:251
	ds_read2_b32 v[38:39], v38 offset1:243
	s_and_saveexec_b64 s[2:3], s[0:1]
	s_cbranch_execz .LBB0_27
; %bb.26:
	ds_read_b32 v63, v40 offset:1944
	ds_read_b32 v62, v40 offset:4536
	;; [unrolled: 1-line block ×3, first 2 shown]
	s_waitcnt lgkmcnt(2)
	v_lshrrev_b32_e32 v64, 16, v63
	s_waitcnt lgkmcnt(1)
	v_lshrrev_b32_e32 v66, 16, v62
	;; [unrolled: 2-line block ×3, first 2 shown]
.LBB0_27:
	s_or_b64 exec, exec, s[2:3]
	v_add_f16_e32 v69, v65, v62
	v_add_f16_e32 v68, v62, v63
	v_fma_f16 v63, v69, -0.5, v63
	v_sub_f16_e32 v70, v66, v67
	s_mov_b32 s2, 0xbaee
	s_movk_i32 s3, 0x3aee
	v_fma_f16 v69, v70, s2, v63
	v_fma_f16 v70, v70, s3, v63
	v_add_f16_e32 v63, v66, v64
	v_add_f16_e32 v66, v67, v66
	v_fma_f16 v66, v66, -0.5, v64
	v_sub_f16_e32 v62, v62, v65
	s_waitcnt lgkmcnt(1)
	v_pk_add_f16 v71, v34, v36
	v_fma_f16 v64, v62, s3, v66
	v_fma_f16 v62, v62, s2, v66
	s_waitcnt lgkmcnt(0)
	v_pk_add_f16 v66, v36, v38
	v_pk_add_f16 v36, v36, v38 neg_lo:[0,1] neg_hi:[0,1]
	v_pk_fma_f16 v34, v66, 0.5, v34 op_sel_hi:[1,0,1] neg_lo:[1,0,0] neg_hi:[1,0,0]
	v_pk_mul_f16 v36, v36, s3 op_sel_hi:[1,0]
	v_add_f16_e32 v68, v65, v68
	v_pk_add_f16 v65, v71, v38
	v_pk_add_f16 v38, v34, v36 op_sel:[0,1] op_sel_hi:[1,0] neg_lo:[0,1] neg_hi:[0,1]
	v_pk_add_f16 v34, v34, v36 op_sel:[0,1] op_sel_hi:[1,0]
	s_mov_b32 s2, 0xffff
	v_bfi_b32 v36, s2, v38, v34
	s_barrier
	ds_write2_b32 v48, v65, v36 offset1:1
	v_pk_add_f16 v36, v37, v39
	v_pk_add_f16 v72, v35, v37
	v_pk_fma_f16 v35, v36, 0.5, v35 op_sel_hi:[1,0,1] neg_lo:[1,0,0] neg_hi:[1,0,0]
	v_pk_add_f16 v36, v37, v39 neg_lo:[0,1] neg_hi:[0,1]
	v_pk_mul_f16 v36, v36, s3 op_sel_hi:[1,0]
	v_bfi_b32 v34, s2, v34, v38
	v_pk_add_f16 v37, v35, v36 op_sel:[0,1] op_sel_hi:[1,0] neg_lo:[0,1] neg_hi:[0,1]
	v_pk_add_f16 v35, v35, v36 op_sel:[0,1] op_sel_hi:[1,0]
	ds_write_b32 v48, v34 offset:8
	v_pk_add_f16 v34, v72, v39
	v_bfi_b32 v36, s2, v37, v35
	v_add_f16_e32 v63, v67, v63
	ds_write2_b32 v49, v34, v36 offset1:1
	v_bfi_b32 v34, s2, v35, v37
	ds_write_b32 v49, v34 offset:8
	s_and_saveexec_b64 s[2:3], s[0:1]
	s_cbranch_execz .LBB0_29
; %bb.28:
	s_mov_b32 s4, 0x5040100
	v_lshlrev_b32_e32 v34, 2, v50
	v_perm_b32 v35, v64, v69, s4
	v_perm_b32 v36, v63, v68, s4
	ds_write2_b32 v34, v36, v35 offset1:1
	v_perm_b32 v35, v62, v70, s4
	ds_write_b32 v34, v35 offset:8
.LBB0_29:
	s_or_b64 exec, exec, s[2:3]
	v_add_u32_e32 v36, 0xa00, v40
	v_add_u32_e32 v38, 0x1440, v40
	s_waitcnt lgkmcnt(0)
	s_barrier
	ds_read2_b32 v[34:35], v40 offset1:243
	ds_read2_b32 v[36:37], v36 offset0:8 offset1:251
	ds_read2_b32 v[38:39], v38 offset1:243
	s_and_saveexec_b64 s[2:3], s[0:1]
	s_cbranch_execz .LBB0_31
; %bb.30:
	ds_read_b32 v68, v40 offset:1944
	ds_read_b32 v69, v40 offset:4536
	;; [unrolled: 1-line block ×3, first 2 shown]
	s_waitcnt lgkmcnt(2)
	v_lshrrev_b32_e32 v63, 16, v68
	s_waitcnt lgkmcnt(1)
	v_lshrrev_b32_e32 v64, 16, v69
	;; [unrolled: 2-line block ×3, first 2 shown]
.LBB0_31:
	s_or_b64 exec, exec, s[2:3]
	s_waitcnt lgkmcnt(1)
	v_lshrrev_b32_e32 v49, 16, v36
	v_mul_f16_sdwa v71, v10, v49 dst_sel:DWORD dst_unused:UNUSED_PAD src0_sel:WORD_1 src1_sel:DWORD
	s_waitcnt lgkmcnt(0)
	v_lshrrev_b32_e32 v50, 16, v38
	v_fma_f16 v71, v10, v36, v71
	v_mul_f16_sdwa v36, v10, v36 dst_sel:DWORD dst_unused:UNUSED_PAD src0_sel:WORD_1 src1_sel:DWORD
	v_fma_f16 v10, v10, v49, -v36
	v_mul_f16_sdwa v36, v11, v50 dst_sel:DWORD dst_unused:UNUSED_PAD src0_sel:WORD_1 src1_sel:DWORD
	v_lshrrev_b32_e32 v66, 16, v37
	v_fma_f16 v36, v11, v38, v36
	v_mul_f16_sdwa v38, v11, v38 dst_sel:DWORD dst_unused:UNUSED_PAD src0_sel:WORD_1 src1_sel:DWORD
	v_fma_f16 v11, v11, v50, -v38
	v_mul_f16_sdwa v38, v14, v66 dst_sel:DWORD dst_unused:UNUSED_PAD src0_sel:WORD_1 src1_sel:DWORD
	;; [unrolled: 5-line block ×3, first 2 shown]
	v_fma_f16 v37, v15, v39, v37
	v_mul_f16_sdwa v39, v15, v39 dst_sel:DWORD dst_unused:UNUSED_PAD src0_sel:WORD_1 src1_sel:DWORD
	v_fma_f16 v15, v15, v67, -v39
	v_mul_f16_sdwa v39, v12, v64 dst_sel:DWORD dst_unused:UNUSED_PAD src0_sel:WORD_1 src1_sel:DWORD
	v_mul_f16_sdwa v49, v12, v69 dst_sel:DWORD dst_unused:UNUSED_PAD src0_sel:WORD_1 src1_sel:DWORD
	v_fma_f16 v39, v12, v69, v39
	v_fma_f16 v12, v12, v64, -v49
	v_mul_f16_sdwa v49, v13, v62 dst_sel:DWORD dst_unused:UNUSED_PAD src0_sel:WORD_1 src1_sel:DWORD
	v_mul_f16_sdwa v50, v13, v70 dst_sel:DWORD dst_unused:UNUSED_PAD src0_sel:WORD_1 src1_sel:DWORD
	v_fma_f16 v49, v13, v70, v49
	v_fma_f16 v13, v13, v62, -v50
	v_add_f16_e32 v62, v71, v36
	v_lshrrev_b32_e32 v48, 16, v34
	v_add_f16_e32 v50, v34, v71
	v_fma_f16 v34, v62, -0.5, v34
	v_sub_f16_e32 v62, v10, v11
	s_mov_b32 s2, 0xbaee
	s_movk_i32 s3, 0x3aee
	v_fma_f16 v64, v62, s2, v34
	v_fma_f16 v62, v62, s3, v34
	v_add_f16_e32 v34, v48, v10
	v_add_f16_e32 v10, v10, v11
	;; [unrolled: 1-line block ×3, first 2 shown]
	v_fma_f16 v10, v10, -0.5, v48
	v_sub_f16_e32 v11, v71, v36
	v_add_f16_e32 v34, v38, v37
	v_lshrrev_b32_e32 v65, 16, v35
	v_fma_f16 v48, v11, s3, v10
	v_fma_f16 v10, v11, s2, v10
	v_add_f16_e32 v11, v35, v38
	v_fma_f16 v34, v34, -0.5, v35
	v_sub_f16_e32 v35, v14, v15
	v_fma_f16 v67, v35, s2, v34
	v_fma_f16 v69, v35, s3, v34
	v_add_f16_e32 v34, v65, v14
	v_add_f16_e32 v14, v14, v15
	;; [unrolled: 1-line block ×3, first 2 shown]
	v_fma_f16 v14, v14, -0.5, v65
	v_sub_f16_e32 v15, v38, v37
	v_fma_f16 v65, v15, s3, v14
	v_fma_f16 v14, v15, s2, v14
	v_add_f16_e32 v15, v68, v39
	v_add_f16_e32 v34, v49, v15
	;; [unrolled: 1-line block ×3, first 2 shown]
	v_fma_f16 v15, v15, -0.5, v68
	v_sub_f16_e32 v35, v12, v13
	v_add_f16_e32 v50, v50, v36
	v_add_f16_e32 v11, v11, v37
	v_fma_f16 v36, v35, s2, v15
	v_fma_f16 v37, v35, s3, v15
	v_add_f16_e32 v15, v12, v63
	v_add_f16_e32 v12, v13, v12
	;; [unrolled: 1-line block ×3, first 2 shown]
	v_fma_f16 v12, v12, -0.5, v63
	v_sub_f16_e32 v13, v39, v49
	v_pack_b32_f16 v10, v62, v10
	v_fma_f16 v39, v13, s3, v12
	v_fma_f16 v38, v13, s2, v12
	s_barrier
	v_pack_b32_f16 v12, v50, v66
	v_pack_b32_f16 v13, v64, v48
	ds_write_b32 v51, v10 offset:24
	v_pack_b32_f16 v10, v11, v70
	v_pack_b32_f16 v11, v67, v65
	ds_write2_b32 v51, v12, v13 offset1:3
	ds_write2_b32 v53, v10, v11 offset1:3
	v_pack_b32_f16 v10, v69, v14
	ds_write_b32 v53, v10 offset:24
	s_and_saveexec_b64 s[2:3], s[0:1]
	s_cbranch_execz .LBB0_33
; %bb.32:
	s_mov_b32 s4, 0x5040100
	v_lshlrev_b32_e32 v10, 2, v52
	v_perm_b32 v11, v35, v34, s4
	v_perm_b32 v12, v39, v36, s4
	ds_write2_b32 v10, v11, v12 offset1:3
	v_perm_b32 v11, v38, v37, s4
	ds_write_b32 v10, v11 offset:24
.LBB0_33:
	s_or_b64 exec, exec, s[2:3]
	v_add_u32_e32 v12, 0xa00, v40
	v_add_u32_e32 v14, 0x1440, v40
	s_waitcnt lgkmcnt(0)
	s_barrier
	ds_read2_b32 v[10:11], v40 offset1:243
	ds_read2_b32 v[12:13], v12 offset0:8 offset1:251
	ds_read2_b32 v[14:15], v14 offset1:243
	s_and_saveexec_b64 s[2:3], s[0:1]
	s_cbranch_execz .LBB0_35
; %bb.34:
	ds_read_b32 v34, v40 offset:1944
	ds_read_b32 v36, v40 offset:4536
	;; [unrolled: 1-line block ×3, first 2 shown]
	s_waitcnt lgkmcnt(2)
	v_lshrrev_b32_e32 v35, 16, v34
	s_waitcnt lgkmcnt(1)
	v_lshrrev_b32_e32 v39, 16, v36
	;; [unrolled: 2-line block ×3, first 2 shown]
.LBB0_35:
	s_or_b64 exec, exec, s[2:3]
	s_waitcnt lgkmcnt(1)
	v_lshrrev_b32_e32 v49, 16, v12
	v_mul_f16_sdwa v62, v18, v49 dst_sel:DWORD dst_unused:UNUSED_PAD src0_sel:WORD_1 src1_sel:DWORD
	s_waitcnt lgkmcnt(0)
	v_lshrrev_b32_e32 v50, 16, v14
	v_fma_f16 v62, v18, v12, v62
	v_mul_f16_sdwa v12, v18, v12 dst_sel:DWORD dst_unused:UNUSED_PAD src0_sel:WORD_1 src1_sel:DWORD
	v_fma_f16 v12, v18, v49, -v12
	v_mul_f16_sdwa v18, v19, v50 dst_sel:DWORD dst_unused:UNUSED_PAD src0_sel:WORD_1 src1_sel:DWORD
	v_lshrrev_b32_e32 v52, 16, v13
	v_fma_f16 v18, v19, v14, v18
	v_mul_f16_sdwa v14, v19, v14 dst_sel:DWORD dst_unused:UNUSED_PAD src0_sel:WORD_1 src1_sel:DWORD
	v_fma_f16 v14, v19, v50, -v14
	v_mul_f16_sdwa v19, v16, v52 dst_sel:DWORD dst_unused:UNUSED_PAD src0_sel:WORD_1 src1_sel:DWORD
	;; [unrolled: 5-line block ×3, first 2 shown]
	v_fma_f16 v16, v17, v15, v16
	v_mul_f16_sdwa v15, v17, v15 dst_sel:DWORD dst_unused:UNUSED_PAD src0_sel:WORD_1 src1_sel:DWORD
	v_fma_f16 v15, v17, v53, -v15
	v_mul_f16_sdwa v17, v20, v39 dst_sel:DWORD dst_unused:UNUSED_PAD src0_sel:WORD_1 src1_sel:DWORD
	v_fma_f16 v49, v20, v36, v17
	v_mul_f16_sdwa v17, v20, v36 dst_sel:DWORD dst_unused:UNUSED_PAD src0_sel:WORD_1 src1_sel:DWORD
	v_fma_f16 v20, v20, v39, -v17
	v_mul_f16_sdwa v17, v21, v38 dst_sel:DWORD dst_unused:UNUSED_PAD src0_sel:WORD_1 src1_sel:DWORD
	v_fma_f16 v36, v21, v37, v17
	v_mul_f16_sdwa v17, v21, v37 dst_sel:DWORD dst_unused:UNUSED_PAD src0_sel:WORD_1 src1_sel:DWORD
	v_fma_f16 v21, v21, v38, -v17
	v_add_f16_e32 v17, v10, v62
	v_add_f16_e32 v37, v17, v18
	v_add_f16_e32 v17, v62, v18
	v_lshrrev_b32_e32 v48, 16, v10
	v_fma_f16 v10, v17, -0.5, v10
	v_sub_f16_e32 v17, v12, v14
	s_mov_b32 s2, 0xbaee
	s_movk_i32 s3, 0x3aee
	v_fma_f16 v38, v17, s2, v10
	v_fma_f16 v10, v17, s3, v10
	v_add_f16_e32 v17, v48, v12
	v_add_f16_e32 v12, v12, v14
	;; [unrolled: 1-line block ×3, first 2 shown]
	v_fma_f16 v12, v12, -0.5, v48
	v_sub_f16_e32 v14, v62, v18
	v_add_f16_e32 v17, v19, v16
	v_lshrrev_b32_e32 v51, 16, v11
	v_fma_f16 v48, v14, s3, v12
	v_fma_f16 v12, v14, s2, v12
	v_add_f16_e32 v14, v11, v19
	v_fma_f16 v11, v17, -0.5, v11
	v_sub_f16_e32 v17, v13, v15
	v_fma_f16 v50, v17, s2, v11
	v_fma_f16 v11, v17, s3, v11
	v_add_f16_e32 v17, v51, v13
	v_add_f16_e32 v13, v13, v15
	;; [unrolled: 1-line block ×3, first 2 shown]
	v_fma_f16 v13, v13, -0.5, v51
	v_sub_f16_e32 v15, v19, v16
	v_fma_f16 v51, v15, s3, v13
	v_fma_f16 v13, v15, s2, v13
	v_add_f16_e32 v15, v34, v49
	v_add_f16_e32 v14, v14, v16
	;; [unrolled: 1-line block ×4, first 2 shown]
	v_fma_f16 v15, v15, -0.5, v34
	v_sub_f16_e32 v17, v20, v21
	v_fma_f16 v18, v17, s2, v15
	v_fma_f16 v19, v17, s3, v15
	v_add_f16_e32 v15, v20, v35
	v_add_f16_e32 v17, v21, v15
	;; [unrolled: 1-line block ×3, first 2 shown]
	v_fma_f16 v15, v15, -0.5, v35
	v_sub_f16_e32 v20, v49, v36
	v_pack_b32_f16 v10, v10, v12
	v_fma_f16 v21, v20, s3, v15
	v_fma_f16 v20, v20, s2, v15
	s_barrier
	v_pack_b32_f16 v15, v37, v39
	v_pack_b32_f16 v34, v38, v48
	ds_write_b32 v56, v10 offset:72
	v_pack_b32_f16 v10, v14, v52
	v_pack_b32_f16 v12, v50, v51
	ds_write2_b32 v56, v15, v34 offset1:9
	ds_write2_b32 v58, v10, v12 offset1:9
	v_pack_b32_f16 v10, v11, v13
	ds_write_b32 v58, v10 offset:72
	s_and_saveexec_b64 s[2:3], s[0:1]
	s_cbranch_execz .LBB0_37
; %bb.36:
	s_mov_b32 s4, 0x5040100
	v_lshlrev_b32_e32 v10, 2, v57
	v_perm_b32 v11, v17, v16, s4
	v_perm_b32 v12, v21, v18, s4
	ds_write2_b32 v10, v11, v12 offset1:9
	v_perm_b32 v11, v20, v19, s4
	ds_write_b32 v10, v11 offset:72
.LBB0_37:
	s_or_b64 exec, exec, s[2:3]
	v_add_u32_e32 v12, 0xa00, v40
	v_add_u32_e32 v14, 0x1440, v40
	s_waitcnt lgkmcnt(0)
	s_barrier
	ds_read2_b32 v[10:11], v40 offset1:243
	ds_read2_b32 v[12:13], v12 offset0:8 offset1:251
	ds_read2_b32 v[14:15], v14 offset1:243
	s_and_saveexec_b64 s[2:3], s[0:1]
	s_cbranch_execz .LBB0_39
; %bb.38:
	ds_read_b32 v16, v40 offset:1944
	ds_read_b32 v18, v40 offset:4536
	ds_read_b32 v19, v40 offset:7128
	s_waitcnt lgkmcnt(2)
	v_lshrrev_b32_e32 v17, 16, v16
	s_waitcnt lgkmcnt(1)
	v_lshrrev_b32_e32 v21, 16, v18
	;; [unrolled: 2-line block ×3, first 2 shown]
.LBB0_39:
	s_or_b64 exec, exec, s[2:3]
	s_waitcnt lgkmcnt(1)
	v_lshrrev_b32_e32 v35, 16, v12
	v_mul_f16_sdwa v48, v22, v35 dst_sel:DWORD dst_unused:UNUSED_PAD src0_sel:WORD_1 src1_sel:DWORD
	s_waitcnt lgkmcnt(0)
	v_lshrrev_b32_e32 v36, 16, v14
	v_fma_f16 v48, v22, v12, v48
	v_mul_f16_sdwa v12, v22, v12 dst_sel:DWORD dst_unused:UNUSED_PAD src0_sel:WORD_1 src1_sel:DWORD
	v_fma_f16 v22, v22, v35, -v12
	v_mul_f16_sdwa v12, v23, v36 dst_sel:DWORD dst_unused:UNUSED_PAD src0_sel:WORD_1 src1_sel:DWORD
	v_lshrrev_b32_e32 v38, 16, v13
	v_fma_f16 v35, v23, v14, v12
	v_mul_f16_sdwa v12, v23, v14 dst_sel:DWORD dst_unused:UNUSED_PAD src0_sel:WORD_1 src1_sel:DWORD
	v_fma_f16 v23, v23, v36, -v12
	v_mul_f16_sdwa v12, v24, v38 dst_sel:DWORD dst_unused:UNUSED_PAD src0_sel:WORD_1 src1_sel:DWORD
	;; [unrolled: 5-line block ×3, first 2 shown]
	v_fma_f16 v38, v25, v15, v12
	v_mul_f16_sdwa v12, v25, v15 dst_sel:DWORD dst_unused:UNUSED_PAD src0_sel:WORD_1 src1_sel:DWORD
	v_fma_f16 v25, v25, v39, -v12
	v_mul_f16_sdwa v12, v26, v21 dst_sel:DWORD dst_unused:UNUSED_PAD src0_sel:WORD_1 src1_sel:DWORD
	v_fma_f16 v12, v26, v18, v12
	v_mul_f16_sdwa v13, v26, v18 dst_sel:DWORD dst_unused:UNUSED_PAD src0_sel:WORD_1 src1_sel:DWORD
	v_add_f16_e32 v18, v10, v48
	v_fma_f16 v14, v26, v21, -v13
	v_add_f16_e32 v26, v18, v35
	v_add_f16_e32 v18, v48, v35
	v_lshrrev_b32_e32 v34, 16, v10
	v_mul_f16_sdwa v13, v27, v20 dst_sel:DWORD dst_unused:UNUSED_PAD src0_sel:WORD_1 src1_sel:DWORD
	v_mul_f16_sdwa v15, v27, v19 dst_sel:DWORD dst_unused:UNUSED_PAD src0_sel:WORD_1 src1_sel:DWORD
	v_fma_f16 v10, v18, -0.5, v10
	v_sub_f16_e32 v18, v22, v23
	s_mov_b32 s2, 0xbaee
	s_movk_i32 s3, 0x3aee
	v_fma_f16 v13, v27, v19, v13
	v_fma_f16 v15, v27, v20, -v15
	v_fma_f16 v27, v18, s2, v10
	v_fma_f16 v39, v18, s3, v10
	v_add_f16_e32 v10, v34, v22
	v_add_f16_e32 v49, v10, v23
	;; [unrolled: 1-line block ×3, first 2 shown]
	v_fma_f16 v10, v10, -0.5, v34
	v_sub_f16_e32 v18, v48, v35
	v_fma_f16 v22, v18, s3, v10
	v_fma_f16 v23, v18, s2, v10
	v_add_f16_e32 v10, v11, v36
	v_add_f16_e32 v34, v10, v38
	;; [unrolled: 1-line block ×3, first 2 shown]
	v_lshrrev_b32_e32 v37, 16, v11
	v_fma_f16 v10, v10, -0.5, v11
	v_sub_f16_e32 v11, v24, v25
	v_fma_f16 v35, v11, s2, v10
	v_fma_f16 v48, v11, s3, v10
	v_add_f16_e32 v10, v37, v24
	v_add_f16_e32 v50, v10, v25
	;; [unrolled: 1-line block ×3, first 2 shown]
	v_fma_f16 v10, v10, -0.5, v37
	v_sub_f16_e32 v11, v36, v38
	v_pack_b32_f16 v26, v26, v49
	v_pack_b32_f16 v22, v27, v22
	v_fma_f16 v24, v11, s3, v10
	v_fma_f16 v25, v11, s2, v10
	v_add_f16_e32 v10, v13, v12
	v_add_f16_e32 v11, v15, v14
	s_barrier
	ds_write2_b32 v59, v26, v22 offset1:27
	v_pack_b32_f16 v22, v39, v23
	v_fma_f16 v18, v10, -0.5, v16
	v_sub_f16_e32 v19, v14, v15
	v_fma_f16 v20, v11, -0.5, v17
	v_sub_f16_e32 v21, v12, v13
	ds_write_b32 v59, v22 offset:216
	v_pack_b32_f16 v22, v34, v50
	v_pack_b32_f16 v23, v35, v24
	v_fma_f16 v10, v19, s3, v18
	v_fma_f16 v11, v21, s2, v20
	ds_write2_b32 v60, v22, v23 offset1:27
	v_pack_b32_f16 v22, v48, v25
	ds_write_b32 v60, v22 offset:216
	s_and_saveexec_b64 s[2:3], s[0:1]
	s_cbranch_execz .LBB0_41
; %bb.40:
	v_mul_f16_e32 v19, 0x3aee, v19
	v_mul_f16_e32 v21, 0x3aee, v21
	v_add_f16_e32 v14, v14, v17
	v_add_f16_e32 v12, v16, v12
	s_movk_i32 s4, 0x51
	v_add_f16_e32 v20, v21, v20
	v_sub_f16_e32 v18, v18, v19
	v_add_f16_e32 v14, v15, v14
	v_add_f16_e32 v12, v13, v12
	v_mad_legacy_u16 v13, v54, s4, v55
	v_lshlrev_b32_e32 v13, 2, v13
	v_pack_b32_f16 v12, v12, v14
	v_pack_b32_f16 v14, v18, v20
	s_mov_b32 s4, 0x5040100
	ds_write2_b32 v13, v12, v14 offset1:27
	v_perm_b32 v12, v11, v10, s4
	ds_write_b32 v13, v12 offset:216
.LBB0_41:
	s_or_b64 exec, exec, s[2:3]
	s_waitcnt lgkmcnt(0)
	s_barrier
	ds_read2_b32 v[12:13], v40 offset1:243
	v_add_u32_e32 v14, 0x780, v40
	ds_read2_b32 v[14:15], v14 offset0:6 offset1:249
	v_add_u32_e32 v16, 0xf00, v40
	ds_read2_b32 v[16:17], v16 offset0:12 offset1:255
	s_waitcnt lgkmcnt(2)
	v_lshrrev_b32_e32 v21, 16, v13
	v_mul_f16_sdwa v34, v0, v21 dst_sel:DWORD dst_unused:UNUSED_PAD src0_sel:WORD_1 src1_sel:DWORD
	s_waitcnt lgkmcnt(1)
	v_lshrrev_b32_e32 v22, 16, v14
	v_fma_f16 v34, v0, v13, v34
	v_mul_f16_sdwa v13, v0, v13 dst_sel:DWORD dst_unused:UNUSED_PAD src0_sel:WORD_1 src1_sel:DWORD
	v_fma_f16 v0, v0, v21, -v13
	v_mul_f16_sdwa v13, v1, v22 dst_sel:DWORD dst_unused:UNUSED_PAD src0_sel:WORD_1 src1_sel:DWORD
	v_add_u32_e32 v18, 0x16c0, v40
	v_lshrrev_b32_e32 v23, 16, v15
	v_fma_f16 v13, v1, v14, v13
	v_mul_f16_sdwa v14, v1, v14 dst_sel:DWORD dst_unused:UNUSED_PAD src0_sel:WORD_1 src1_sel:DWORD
	ds_read2_b32 v[18:19], v18 offset0:2 offset1:245
	v_fma_f16 v1, v1, v22, -v14
	v_mul_f16_sdwa v14, v2, v23 dst_sel:DWORD dst_unused:UNUSED_PAD src0_sel:WORD_1 src1_sel:DWORD
	s_waitcnt lgkmcnt(1)
	v_lshrrev_b32_e32 v24, 16, v16
	v_fma_f16 v14, v2, v15, v14
	v_mul_f16_sdwa v15, v2, v15 dst_sel:DWORD dst_unused:UNUSED_PAD src0_sel:WORD_1 src1_sel:DWORD
	v_fma_f16 v2, v2, v23, -v15
	v_mul_f16_sdwa v15, v3, v24 dst_sel:DWORD dst_unused:UNUSED_PAD src0_sel:WORD_1 src1_sel:DWORD
	v_lshrrev_b32_e32 v25, 16, v17
	v_fma_f16 v15, v3, v16, v15
	v_mul_f16_sdwa v16, v3, v16 dst_sel:DWORD dst_unused:UNUSED_PAD src0_sel:WORD_1 src1_sel:DWORD
	v_fma_f16 v3, v3, v24, -v16
	v_mul_f16_sdwa v16, v4, v25 dst_sel:DWORD dst_unused:UNUSED_PAD src0_sel:WORD_1 src1_sel:DWORD
	s_waitcnt lgkmcnt(0)
	v_lshrrev_b32_e32 v26, 16, v18
	v_fma_f16 v16, v4, v17, v16
	v_mul_f16_sdwa v17, v4, v17 dst_sel:DWORD dst_unused:UNUSED_PAD src0_sel:WORD_1 src1_sel:DWORD
	v_fma_f16 v4, v4, v25, -v17
	v_mul_f16_sdwa v17, v5, v26 dst_sel:DWORD dst_unused:UNUSED_PAD src0_sel:WORD_1 src1_sel:DWORD
	v_lshrrev_b32_e32 v27, 16, v19
	v_fma_f16 v17, v5, v18, v17
	v_mul_f16_sdwa v18, v5, v18 dst_sel:DWORD dst_unused:UNUSED_PAD src0_sel:WORD_1 src1_sel:DWORD
	v_fma_f16 v5, v5, v26, -v18
	v_mul_f16_sdwa v18, v6, v27 dst_sel:DWORD dst_unused:UNUSED_PAD src0_sel:WORD_1 src1_sel:DWORD
	v_lshrrev_b32_e32 v20, 16, v12
	v_fma_f16 v18, v6, v19, v18
	v_mul_f16_sdwa v19, v6, v19 dst_sel:DWORD dst_unused:UNUSED_PAD src0_sel:WORD_1 src1_sel:DWORD
	v_sub_f16_e32 v15, v12, v15
	v_sub_f16_e32 v3, v20, v3
	;; [unrolled: 1-line block ×5, first 2 shown]
	v_fma_f16 v6, v6, v27, -v19
	v_fma_f16 v12, v12, 2.0, -v15
	v_fma_f16 v19, v20, 2.0, -v3
	;; [unrolled: 1-line block ×3, first 2 shown]
	v_sub_f16_e32 v4, v0, v4
	v_fma_f16 v20, v34, 2.0, -v16
	v_fma_f16 v14, v14, 2.0, -v18
	v_sub_f16_e32 v5, v1, v5
	v_sub_f16_e32 v6, v2, v6
	;; [unrolled: 1-line block ×6, first 2 shown]
	v_fma_f16 v1, v1, 2.0, -v5
	v_fma_f16 v0, v0, 2.0, -v4
	;; [unrolled: 1-line block ×4, first 2 shown]
	v_add_f16_e32 v5, v15, v5
	v_fma_f16 v3, v3, 2.0, -v17
	v_fma_f16 v20, v20, 2.0, -v14
	v_add_f16_e32 v21, v16, v6
	v_fma_f16 v4, v4, 2.0, -v18
	s_mov_b32 s2, 0xb9a8
	v_fma_f16 v15, v15, 2.0, -v5
	v_sub_f16_e32 v2, v0, v2
	v_fma_f16 v6, v16, 2.0, -v21
	v_sub_f16_e32 v16, v12, v20
	v_fma_f16 v22, v4, s2, v3
	v_sub_f16_e32 v1, v19, v1
	v_fma_f16 v20, v12, 2.0, -v16
	v_fma_f16 v12, v6, s2, v15
	s_movk_i32 s3, 0x39a8
	v_fma_f16 v22, v6, s2, v22
	v_add_f16_e32 v6, v13, v2
	v_fma_f16 v0, v0, 2.0, -v2
	v_fma_f16 v4, v4, s3, v12
	v_sub_f16_e32 v12, v1, v14
	v_fma_f16 v2, v13, 2.0, -v6
	v_fma_f16 v13, v21, s3, v5
	v_fma_f16 v14, v18, s3, v17
	;; [unrolled: 1-line block ×4, first 2 shown]
	v_fma_f16 v19, v19, 2.0, -v1
	v_fma_f16 v1, v1, 2.0, -v12
	v_fma_f16 v5, v5, 2.0, -v13
	v_fma_f16 v17, v17, 2.0, -v14
	v_sub_f16_e32 v0, v19, v0
	v_pack_b32_f16 v1, v2, v1
	v_pack_b32_f16 v2, v5, v17
	v_fma_f16 v19, v19, 2.0, -v0
	s_barrier
	ds_write2_b32 v61, v1, v2 offset0:162 offset1:243
	v_pack_b32_f16 v0, v16, v0
	v_pack_b32_f16 v1, v4, v22
	v_add_u32_e32 v2, 0x400, v61
	v_fma_f16 v15, v15, 2.0, -v4
	v_fma_f16 v3, v3, 2.0, -v22
	ds_write2_b32 v2, v0, v1 offset0:68 offset1:149
	v_pack_b32_f16 v0, v6, v12
	v_pack_b32_f16 v1, v13, v14
	v_add_u32_e32 v2, 0x600, v61
	v_pack_b32_f16 v18, v20, v19
	v_pack_b32_f16 v3, v15, v3
	ds_write2_b32 v2, v0, v1 offset0:102 offset1:183
	v_add_u32_e32 v2, 0xa00, v40
	v_add_u32_e32 v4, 0x1440, v40
	ds_write2_b32 v61, v18, v3 offset1:81
	s_waitcnt lgkmcnt(0)
	s_barrier
	ds_read2_b32 v[0:1], v40 offset1:243
	ds_read2_b32 v[2:3], v2 offset0:8 offset1:251
	ds_read2_b32 v[4:5], v4 offset1:243
	s_and_saveexec_b64 s[2:3], s[0:1]
	s_cbranch_execz .LBB0_43
; %bb.42:
	ds_read_b32 v6, v40 offset:1944
	ds_read_b32 v13, v40 offset:4536
	;; [unrolled: 1-line block ×3, first 2 shown]
	s_waitcnt lgkmcnt(2)
	v_lshrrev_b32_e32 v12, 16, v6
	s_waitcnt lgkmcnt(1)
	v_lshrrev_b32_e32 v14, 16, v13
	;; [unrolled: 2-line block ×3, first 2 shown]
.LBB0_43:
	s_or_b64 exec, exec, s[2:3]
	s_waitcnt lgkmcnt(1)
	v_lshrrev_b32_e32 v16, 16, v2
	v_mul_f16_sdwa v21, v30, v16 dst_sel:DWORD dst_unused:UNUSED_PAD src0_sel:WORD_1 src1_sel:DWORD
	s_waitcnt lgkmcnt(0)
	v_lshrrev_b32_e32 v17, 16, v4
	v_fma_f16 v21, v30, v2, v21
	v_mul_f16_sdwa v2, v30, v2 dst_sel:DWORD dst_unused:UNUSED_PAD src0_sel:WORD_1 src1_sel:DWORD
	v_fma_f16 v2, v30, v16, -v2
	v_mul_f16_sdwa v16, v31, v17 dst_sel:DWORD dst_unused:UNUSED_PAD src0_sel:WORD_1 src1_sel:DWORD
	v_lshrrev_b32_e32 v19, 16, v3
	v_fma_f16 v16, v31, v4, v16
	v_mul_f16_sdwa v4, v31, v4 dst_sel:DWORD dst_unused:UNUSED_PAD src0_sel:WORD_1 src1_sel:DWORD
	v_fma_f16 v4, v31, v17, -v4
	v_mul_f16_sdwa v17, v32, v19 dst_sel:DWORD dst_unused:UNUSED_PAD src0_sel:WORD_1 src1_sel:DWORD
	;; [unrolled: 5-line block ×3, first 2 shown]
	v_fma_f16 v19, v33, v5, v19
	v_mul_f16_sdwa v5, v33, v5 dst_sel:DWORD dst_unused:UNUSED_PAD src0_sel:WORD_1 src1_sel:DWORD
	v_add_f16_e32 v22, v21, v16
	v_lshrrev_b32_e32 v15, 16, v0
	v_fma_f16 v5, v33, v20, -v5
	v_add_f16_e32 v20, v0, v21
	v_fma_f16 v0, v22, -0.5, v0
	v_sub_f16_e32 v22, v2, v4
	s_mov_b32 s4, 0xbaee
	s_movk_i32 s5, 0x3aee
	v_fma_f16 v23, v22, s4, v0
	v_fma_f16 v0, v22, s5, v0
	v_add_f16_e32 v22, v15, v2
	v_add_f16_e32 v2, v2, v4
	;; [unrolled: 1-line block ×4, first 2 shown]
	v_fma_f16 v2, v2, -0.5, v15
	v_sub_f16_e32 v4, v21, v16
	v_add_f16_e32 v16, v17, v19
	v_lshrrev_b32_e32 v18, 16, v1
	v_fma_f16 v15, v4, s5, v2
	v_fma_f16 v2, v4, s4, v2
	v_add_f16_e32 v4, v1, v17
	v_fma_f16 v1, v16, -0.5, v1
	v_sub_f16_e32 v16, v3, v5
	v_fma_f16 v21, v16, s4, v1
	v_fma_f16 v1, v16, s5, v1
	v_add_f16_e32 v16, v18, v3
	v_add_f16_e32 v3, v3, v5
	;; [unrolled: 1-line block ×4, first 2 shown]
	v_fma_f16 v3, v3, -0.5, v18
	v_sub_f16_e32 v5, v17, v19
	v_pack_b32_f16 v0, v0, v2
	v_fma_f16 v17, v5, s5, v3
	v_fma_f16 v3, v5, s4, v3
	v_pack_b32_f16 v5, v20, v22
	v_pack_b32_f16 v15, v23, v15
	ds_write_b32 v40, v0 offset:5184
	v_pack_b32_f16 v0, v4, v16
	ds_write_b32 v40, v15 offset:2592
	ds_write2_b32 v40, v5, v0 offset1:243
	v_pack_b32_f16 v0, v21, v17
	ds_write_b32 v40, v0 offset:3564
	v_pack_b32_f16 v0, v1, v3
	ds_write_b32 v40, v0 offset:6156
	s_and_saveexec_b64 s[2:3], s[0:1]
	s_cbranch_execz .LBB0_45
; %bb.44:
	v_mul_f16_sdwa v0, v28, v14 dst_sel:DWORD dst_unused:UNUSED_PAD src0_sel:WORD_1 src1_sel:DWORD
	v_mul_f16_sdwa v1, v29, v11 dst_sel:DWORD dst_unused:UNUSED_PAD src0_sel:WORD_1 src1_sel:DWORD
	;; [unrolled: 1-line block ×4, first 2 shown]
	v_fma_f16 v0, v28, v13, v0
	v_fma_f16 v1, v29, v10, v1
	v_fma_f16 v3, v28, v14, -v3
	v_fma_f16 v4, v29, v11, -v4
	v_sub_f16_e32 v2, v0, v1
	v_add_f16_e32 v5, v4, v3
	v_add_f16_e32 v11, v1, v0
	v_sub_f16_e32 v13, v3, v4
	v_add_f16_e32 v3, v3, v12
	v_add_f16_e32 v0, v6, v0
	v_fma_f16 v5, v5, -0.5, v12
	v_fma_f16 v11, v11, -0.5, v6
	v_add_f16_e32 v3, v4, v3
	v_add_f16_e32 v0, v1, v0
	v_fma_f16 v10, v2, s5, v5
	v_fma_f16 v14, v13, s4, v11
	v_pack_b32_f16 v0, v0, v3
	v_fma_f16 v1, v2, s4, v5
	v_fma_f16 v2, v13, s5, v11
	ds_write_b32 v40, v0 offset:1944
	v_pack_b32_f16 v0, v14, v10
	ds_write_b32 v40, v0 offset:4536
	v_pack_b32_f16 v0, v2, v1
	ds_write_b32 v40, v0 offset:7128
.LBB0_45:
	s_or_b64 exec, exec, s[2:3]
	s_waitcnt lgkmcnt(0)
	s_barrier
	ds_read2_b32 v[0:1], v40 offset1:243
	s_mov_b32 s12, 0xa88f4696
	s_mov_b32 s13, 0x3f40db20
	v_mad_u64_u32 v[4:5], s[2:3], s10, v9, 0
	s_waitcnt lgkmcnt(0)
	v_lshrrev_b32_e32 v10, 16, v0
	v_mul_f16_sdwa v2, v47, v10 dst_sel:DWORD dst_unused:UNUSED_PAD src0_sel:WORD_1 src1_sel:DWORD
	v_fma_f16 v2, v47, v0, v2
	v_cvt_f32_f16_e32 v2, v2
	s_movk_i32 s10, 0x1ff
	v_mad_u64_u32 v[5:6], s[2:3], s11, v9, v[5:6]
	v_cvt_f64_f32_e32 v[2:3], v2
	s_movk_i32 s11, 0xffe
	v_mul_f16_sdwa v0, v47, v0 dst_sel:DWORD dst_unused:UNUSED_PAD src0_sel:WORD_1 src1_sel:DWORD
	v_fma_f16 v0, v47, v10, -v0
	v_mul_f64 v[2:3], v[2:3], s[12:13]
	v_cvt_f32_f16_e32 v0, v0
	s_movk_i32 s14, 0x40f
	s_mov_b32 s15, 0x8000
	v_mov_b32_e32 v16, s7
	s_movk_i32 s16, 0x1000
	v_and_or_b32 v2, v3, s10, v2
	v_cmp_ne_u32_e32 vcc, 0, v2
	v_lshrrev_b32_e32 v6, 8, v3
	v_bfe_u32 v9, v3, 20, 11
	v_cndmask_b32_e64 v2, 0, 1, vcc
	v_and_or_b32 v6, v6, s11, v2
	v_sub_u32_e32 v11, 0x3f1, v9
	v_or_b32_e32 v2, 0x1000, v6
	v_med3_i32 v11, v11, 0, 13
	v_lshrrev_b32_e32 v12, v11, v2
	v_lshlrev_b32_e32 v11, v11, v12
	v_cmp_ne_u32_e32 vcc, v11, v2
	v_cndmask_b32_e64 v2, 0, 1, vcc
	v_add_u32_e32 v11, 0xfffffc10, v9
	v_or_b32_e32 v2, v12, v2
	v_lshl_or_b32 v9, v11, 12, v6
	v_cmp_gt_i32_e32 vcc, 1, v11
	v_cndmask_b32_e32 v2, v9, v2, vcc
	v_and_b32_e32 v9, 7, v2
	v_cmp_lt_i32_e32 vcc, 5, v9
	v_cmp_eq_u32_e64 s[2:3], 3, v9
	v_cvt_f64_f32_e32 v[9:10], v0
	v_lshrrev_b32_e32 v2, 2, v2
	s_or_b64 vcc, s[2:3], vcc
	v_addc_co_u32_e32 v12, vcc, 0, v2, vcc
	v_mul_f64 v[9:10], v[9:10], s[12:13]
	v_mov_b32_e32 v2, 0x7c00
	v_cmp_gt_i32_e32 vcc, 31, v11
	v_cndmask_b32_e32 v0, v2, v12, vcc
	v_cmp_ne_u32_e32 vcc, 0, v6
	v_cndmask_b32_e64 v6, 0, 1, vcc
	v_lshl_or_b32 v6, v6, 9, v2
	v_cmp_eq_u32_e32 vcc, s14, v11
	v_cndmask_b32_e32 v0, v0, v6, vcc
	v_lshrrev_b32_e32 v3, 16, v3
	v_and_or_b32 v3, v3, s15, v0
	v_and_or_b32 v0, v10, s10, v9
	v_cmp_ne_u32_e32 vcc, 0, v0
	v_cndmask_b32_e64 v0, 0, 1, vcc
	v_lshrrev_b32_e32 v6, 8, v10
	v_bfe_u32 v9, v10, 20, 11
	v_and_or_b32 v0, v6, s11, v0
	v_sub_u32_e32 v11, 0x3f1, v9
	v_or_b32_e32 v6, 0x1000, v0
	v_med3_i32 v11, v11, 0, 13
	v_lshrrev_b32_e32 v12, v11, v6
	v_lshlrev_b32_e32 v11, v11, v12
	v_cmp_ne_u32_e32 vcc, v11, v6
	v_cndmask_b32_e64 v6, 0, 1, vcc
	v_add_u32_e32 v9, 0xfffffc10, v9
	v_or_b32_e32 v6, v12, v6
	v_lshl_or_b32 v11, v9, 12, v0
	v_cmp_gt_i32_e32 vcc, 1, v9
	v_cndmask_b32_e32 v6, v11, v6, vcc
	v_and_b32_e32 v11, 7, v6
	v_cmp_lt_i32_e32 vcc, 5, v11
	v_cmp_eq_u32_e64 s[2:3], 3, v11
	v_lshrrev_b32_e32 v6, 2, v6
	s_or_b64 vcc, s[2:3], vcc
	v_addc_co_u32_e32 v6, vcc, 0, v6, vcc
	v_cmp_gt_i32_e32 vcc, 31, v9
	v_cndmask_b32_e32 v6, v2, v6, vcc
	v_cmp_ne_u32_e32 vcc, 0, v0
	v_cndmask_b32_e64 v0, 0, 1, vcc
	v_lshl_or_b32 v0, v0, 9, v2
	v_cmp_eq_u32_e32 vcc, s14, v9
	v_cndmask_b32_e32 v6, v6, v0, vcc
	v_add_u32_e32 v0, 0xa00, v40
	v_mad_u64_u32 v[11:12], s[2:3], s8, v45, 0
	ds_read2_b32 v[13:14], v0 offset0:8 offset1:251
	v_lshrrev_b32_e32 v15, 16, v10
	v_mov_b32_e32 v0, v12
	v_mad_u64_u32 v[9:10], s[2:3], s9, v45, v[0:1]
	s_waitcnt lgkmcnt(0)
	v_lshrrev_b32_e32 v0, 16, v13
	v_mul_f16_sdwa v10, v46, v0 dst_sel:DWORD dst_unused:UNUSED_PAD src0_sel:WORD_1 src1_sel:DWORD
	v_fma_f16 v10, v46, v13, v10
	v_cvt_f32_f16_e32 v10, v10
	v_mov_b32_e32 v12, v9
	v_and_or_b32 v6, v15, s15, v6
	v_and_b32_e32 v3, 0xffff, v3
	v_cvt_f64_f32_e32 v[9:10], v10
	v_lshl_or_b32 v15, v6, 16, v3
	v_lshlrev_b64 v[3:4], 2, v[4:5]
	v_mul_f64 v[5:6], v[9:10], s[12:13]
	v_add_co_u32_e32 v9, vcc, s6, v3
	v_addc_co_u32_e32 v10, vcc, v16, v4, vcc
	v_lshlrev_b64 v[3:4], 2, v[11:12]
	v_add_co_u32_e32 v3, vcc, v9, v3
	v_addc_co_u32_e32 v4, vcc, v10, v4, vcc
	v_and_or_b32 v5, v6, s10, v5
	v_cmp_ne_u32_e32 vcc, 0, v5
	v_cndmask_b32_e64 v5, 0, 1, vcc
	v_lshrrev_b32_e32 v9, 8, v6
	v_bfe_u32 v10, v6, 20, 11
	v_and_or_b32 v5, v9, s11, v5
	v_sub_u32_e32 v11, 0x3f1, v10
	v_or_b32_e32 v9, 0x1000, v5
	v_med3_i32 v11, v11, 0, 13
	v_lshrrev_b32_e32 v12, v11, v9
	v_lshlrev_b32_e32 v11, v11, v12
	v_cmp_ne_u32_e32 vcc, v11, v9
	v_cndmask_b32_e64 v9, 0, 1, vcc
	v_or_b32_e32 v9, v12, v9
	v_mul_f16_sdwa v12, v46, v13 dst_sel:DWORD dst_unused:UNUSED_PAD src0_sel:WORD_1 src1_sel:DWORD
	v_fma_f16 v0, v46, v0, -v12
	v_add_u32_e32 v11, 0xfffffc10, v10
	v_cvt_f32_f16_e32 v0, v0
	v_lshl_or_b32 v10, v11, 12, v5
	v_cmp_gt_i32_e32 vcc, 1, v11
	v_cndmask_b32_e32 v9, v10, v9, vcc
	v_and_b32_e32 v10, 7, v9
	v_cmp_lt_i32_e32 vcc, 5, v10
	v_cmp_eq_u32_e64 s[2:3], 3, v10
	v_lshrrev_b32_e32 v12, 2, v9
	v_cvt_f64_f32_e32 v[9:10], v0
	s_or_b64 vcc, s[2:3], vcc
	v_addc_co_u32_e32 v0, vcc, 0, v12, vcc
	v_mul_f64 v[9:10], v[9:10], s[12:13]
	v_cmp_gt_i32_e32 vcc, 31, v11
	v_cndmask_b32_e32 v0, v2, v0, vcc
	v_cmp_ne_u32_e32 vcc, 0, v5
	v_cndmask_b32_e64 v5, 0, 1, vcc
	v_lshl_or_b32 v5, v5, 9, v2
	v_cmp_eq_u32_e32 vcc, s14, v11
	v_cndmask_b32_e32 v0, v0, v5, vcc
	v_lshrrev_b32_e32 v5, 16, v6
	v_and_or_b32 v0, v5, s15, v0
	v_and_or_b32 v5, v10, s10, v9
	v_cmp_ne_u32_e32 vcc, 0, v5
	v_cndmask_b32_e64 v5, 0, 1, vcc
	v_lshrrev_b32_e32 v6, 8, v10
	v_bfe_u32 v9, v10, 20, 11
	v_and_or_b32 v5, v6, s11, v5
	v_sub_u32_e32 v11, 0x3f1, v9
	v_or_b32_e32 v6, 0x1000, v5
	v_med3_i32 v11, v11, 0, 13
	v_lshrrev_b32_e32 v12, v11, v6
	v_lshlrev_b32_e32 v11, v11, v12
	v_cmp_ne_u32_e32 vcc, v11, v6
	v_cndmask_b32_e64 v6, 0, 1, vcc
	v_add_u32_e32 v9, 0xfffffc10, v9
	v_or_b32_e32 v6, v12, v6
	v_lshl_or_b32 v11, v9, 12, v5
	v_cmp_gt_i32_e32 vcc, 1, v9
	v_cndmask_b32_e32 v6, v11, v6, vcc
	v_and_b32_e32 v11, 7, v6
	v_cmp_lt_i32_e32 vcc, 5, v11
	v_cmp_eq_u32_e64 s[2:3], 3, v11
	v_lshrrev_b32_e32 v6, 2, v6
	s_or_b64 vcc, s[2:3], vcc
	v_addc_co_u32_e32 v6, vcc, 0, v6, vcc
	v_cmp_gt_i32_e32 vcc, 31, v9
	v_cndmask_b32_e32 v11, v2, v6, vcc
	v_cmp_ne_u32_e32 vcc, 0, v5
	v_cndmask_b32_e64 v5, 0, 1, vcc
	v_lshl_or_b32 v12, v5, 9, v2
	v_add_u32_e32 v5, 0x1440, v40
	ds_read2_b32 v[5:6], v5 offset1:243
	v_cmp_eq_u32_e32 vcc, s14, v9
	v_cndmask_b32_e32 v9, v11, v12, vcc
	v_lshrrev_b32_e32 v10, 16, v10
	v_and_or_b32 v11, v10, s15, v9
	s_waitcnt lgkmcnt(0)
	v_lshrrev_b32_e32 v12, 16, v5
	v_mul_f16_sdwa v9, v44, v12 dst_sel:DWORD dst_unused:UNUSED_PAD src0_sel:WORD_1 src1_sel:DWORD
	v_fma_f16 v9, v44, v5, v9
	v_cvt_f32_f16_e32 v9, v9
	s_mul_i32 s2, s9, 0x288
	s_mul_hi_u32 s3, s8, 0x288
	s_add_i32 s3, s3, s2
	v_cvt_f64_f32_e32 v[9:10], v9
	s_mul_i32 s2, s8, 0x288
	s_lshl_b64 s[6:7], s[2:3], 2
	global_store_dword v[3:4], v15, off
	v_mul_f64 v[9:10], v[9:10], s[12:13]
	v_and_b32_e32 v0, 0xffff, v0
	v_mov_b32_e32 v13, s7
	v_add_co_u32_e32 v3, vcc, s6, v3
	v_lshl_or_b32 v0, v11, 16, v0
	v_addc_co_u32_e32 v4, vcc, v4, v13, vcc
	global_store_dword v[3:4], v0, off
	v_and_or_b32 v0, v10, s10, v9
	v_cmp_ne_u32_e32 vcc, 0, v0
	v_cndmask_b32_e64 v0, 0, 1, vcc
	v_lshrrev_b32_e32 v9, 8, v10
	v_bfe_u32 v11, v10, 20, 11
	v_and_or_b32 v0, v9, s11, v0
	v_sub_u32_e32 v15, 0x3f1, v11
	v_or_b32_e32 v9, 0x1000, v0
	v_med3_i32 v15, v15, 0, 13
	v_lshrrev_b32_e32 v16, v15, v9
	v_lshlrev_b32_e32 v15, v15, v16
	v_mul_f16_sdwa v5, v44, v5 dst_sel:DWORD dst_unused:UNUSED_PAD src0_sel:WORD_1 src1_sel:DWORD
	v_cmp_ne_u32_e32 vcc, v15, v9
	v_fma_f16 v5, v44, v12, -v5
	v_cndmask_b32_e64 v9, 0, 1, vcc
	v_add_u32_e32 v15, 0xfffffc10, v11
	v_cvt_f32_f16_e32 v5, v5
	v_or_b32_e32 v9, v16, v9
	v_lshl_or_b32 v11, v15, 12, v0
	v_cmp_gt_i32_e32 vcc, 1, v15
	v_cndmask_b32_e32 v9, v11, v9, vcc
	v_and_b32_e32 v11, 7, v9
	v_cmp_lt_i32_e32 vcc, 5, v11
	v_cmp_eq_u32_e64 s[2:3], 3, v11
	v_cvt_f64_f32_e32 v[11:12], v5
	v_lshrrev_b32_e32 v9, 2, v9
	s_or_b64 vcc, s[2:3], vcc
	v_addc_co_u32_e32 v5, vcc, 0, v9, vcc
	v_mul_f64 v[11:12], v[11:12], s[12:13]
	v_cmp_gt_i32_e32 vcc, 31, v15
	v_cndmask_b32_e32 v5, v2, v5, vcc
	v_cmp_ne_u32_e32 vcc, 0, v0
	v_cndmask_b32_e64 v0, 0, 1, vcc
	v_lshl_or_b32 v0, v0, 9, v2
	v_cmp_eq_u32_e32 vcc, s14, v15
	v_cndmask_b32_e32 v0, v5, v0, vcc
	v_lshrrev_b32_e32 v5, 16, v10
	v_and_or_b32 v0, v5, s15, v0
	v_and_or_b32 v5, v12, s10, v11
	v_cmp_ne_u32_e32 vcc, 0, v5
	v_cndmask_b32_e64 v5, 0, 1, vcc
	v_lshrrev_b32_e32 v9, 8, v12
	v_bfe_u32 v10, v12, 20, 11
	v_and_or_b32 v5, v9, s11, v5
	v_sub_u32_e32 v11, 0x3f1, v10
	v_or_b32_e32 v9, 0x1000, v5
	v_med3_i32 v11, v11, 0, 13
	v_lshrrev_b32_e32 v15, v11, v9
	v_lshlrev_b32_e32 v11, v11, v15
	v_cmp_ne_u32_e32 vcc, v11, v9
	v_cndmask_b32_e64 v9, 0, 1, vcc
	v_add_u32_e32 v11, 0xfffffc10, v10
	v_or_b32_e32 v9, v15, v9
	v_lshl_or_b32 v10, v11, 12, v5
	v_cmp_gt_i32_e32 vcc, 1, v11
	v_cndmask_b32_e32 v9, v10, v9, vcc
	v_and_b32_e32 v10, 7, v9
	v_cmp_lt_i32_e32 vcc, 5, v10
	v_cmp_eq_u32_e64 s[2:3], 3, v10
	v_lshrrev_b32_e32 v9, 2, v9
	s_or_b64 vcc, s[2:3], vcc
	v_addc_co_u32_e32 v9, vcc, 0, v9, vcc
	v_cmp_gt_i32_e32 vcc, 31, v11
	v_lshrrev_b32_e32 v16, 16, v1
	v_cndmask_b32_e32 v15, v2, v9, vcc
	v_mul_f16_sdwa v9, v43, v16 dst_sel:DWORD dst_unused:UNUSED_PAD src0_sel:WORD_1 src1_sel:DWORD
	v_fma_f16 v9, v43, v1, v9
	v_cvt_f32_f16_e32 v9, v9
	v_cmp_ne_u32_e32 vcc, 0, v5
	v_cndmask_b32_e64 v5, 0, 1, vcc
	v_lshl_or_b32 v5, v5, 9, v2
	v_cvt_f64_f32_e32 v[9:10], v9
	v_cmp_eq_u32_e32 vcc, s14, v11
	v_cndmask_b32_e32 v5, v15, v5, vcc
	v_lshrrev_b32_e32 v11, 16, v12
	v_mul_f64 v[9:10], v[9:10], s[12:13]
	v_and_or_b32 v5, v11, s15, v5
	v_and_b32_e32 v0, 0xffff, v0
	v_add_co_u32_e32 v3, vcc, s6, v3
	v_lshl_or_b32 v0, v5, 16, v0
	v_addc_co_u32_e32 v4, vcc, v4, v13, vcc
	global_store_dword v[3:4], v0, off
	v_and_or_b32 v0, v10, s10, v9
	v_cmp_ne_u32_e32 vcc, 0, v0
	v_cndmask_b32_e64 v0, 0, 1, vcc
	v_lshrrev_b32_e32 v5, 8, v10
	v_bfe_u32 v9, v10, 20, 11
	v_and_or_b32 v5, v5, s11, v0
	v_sub_u32_e32 v11, 0x3f1, v9
	v_or_b32_e32 v0, 0x1000, v5
	v_med3_i32 v11, v11, 0, 13
	v_lshrrev_b32_e32 v12, v11, v0
	v_lshlrev_b32_e32 v11, v11, v12
	v_mul_f16_sdwa v1, v43, v1 dst_sel:DWORD dst_unused:UNUSED_PAD src0_sel:WORD_1 src1_sel:DWORD
	v_cmp_ne_u32_e32 vcc, v11, v0
	v_fma_f16 v1, v43, v16, -v1
	v_cndmask_b32_e64 v0, 0, 1, vcc
	v_add_u32_e32 v9, 0xfffffc10, v9
	v_cvt_f32_f16_e32 v1, v1
	v_or_b32_e32 v0, v12, v0
	v_lshl_or_b32 v11, v9, 12, v5
	v_cmp_gt_i32_e32 vcc, 1, v9
	v_cndmask_b32_e32 v0, v11, v0, vcc
	v_and_b32_e32 v11, 7, v0
	v_cmp_lt_i32_e32 vcc, 5, v11
	v_cmp_eq_u32_e64 s[2:3], 3, v11
	v_lshrrev_b32_e32 v11, 2, v0
	v_cvt_f64_f32_e32 v[0:1], v1
	s_or_b64 vcc, s[2:3], vcc
	v_addc_co_u32_e32 v11, vcc, 0, v11, vcc
	v_mul_f64 v[0:1], v[0:1], s[12:13]
	v_cmp_gt_i32_e32 vcc, 31, v9
	v_cndmask_b32_e32 v11, v2, v11, vcc
	v_cmp_ne_u32_e32 vcc, 0, v5
	v_cndmask_b32_e64 v5, 0, 1, vcc
	v_lshl_or_b32 v5, v5, 9, v2
	v_cmp_eq_u32_e32 vcc, s14, v9
	v_cndmask_b32_e32 v5, v11, v5, vcc
	v_and_or_b32 v0, v1, s10, v0
	v_lshrrev_b32_e32 v9, 16, v10
	v_cmp_ne_u32_e32 vcc, 0, v0
	v_and_or_b32 v5, v9, s15, v5
	v_cndmask_b32_e64 v0, 0, 1, vcc
	v_lshrrev_b32_e32 v9, 8, v1
	v_bfe_u32 v10, v1, 20, 11
	v_and_or_b32 v0, v9, s11, v0
	v_sub_u32_e32 v11, 0x3f1, v10
	v_or_b32_e32 v9, 0x1000, v0
	v_med3_i32 v11, v11, 0, 13
	v_lshrrev_b32_e32 v12, v11, v9
	v_lshlrev_b32_e32 v11, v11, v12
	v_cmp_ne_u32_e32 vcc, v11, v9
	v_cndmask_b32_e64 v9, 0, 1, vcc
	v_add_u32_e32 v10, 0xfffffc10, v10
	v_or_b32_e32 v9, v12, v9
	v_lshl_or_b32 v11, v10, 12, v0
	v_cmp_gt_i32_e32 vcc, 1, v10
	v_cndmask_b32_e32 v9, v11, v9, vcc
	v_and_b32_e32 v11, 7, v9
	v_cmp_lt_i32_e32 vcc, 5, v11
	v_cmp_eq_u32_e64 s[2:3], 3, v11
	v_lshrrev_b32_e32 v9, 2, v9
	s_or_b64 vcc, s[2:3], vcc
	v_addc_co_u32_e32 v9, vcc, 0, v9, vcc
	v_cmp_gt_i32_e32 vcc, 31, v10
	v_cndmask_b32_e32 v9, v2, v9, vcc
	v_cmp_ne_u32_e32 vcc, 0, v0
	v_cndmask_b32_e64 v0, 0, 1, vcc
	v_lshl_or_b32 v0, v0, 9, v2
	v_cmp_eq_u32_e32 vcc, s14, v10
	v_cndmask_b32_e32 v0, v9, v0, vcc
	v_lshrrev_b32_e32 v1, 16, v1
	v_lshrrev_b32_e32 v10, 16, v14
	v_and_or_b32 v9, v1, s15, v0
	v_mul_f16_sdwa v0, v42, v10 dst_sel:DWORD dst_unused:UNUSED_PAD src0_sel:WORD_1 src1_sel:DWORD
	v_fma_f16 v0, v42, v14, v0
	v_cvt_f32_f16_e32 v0, v0
	s_mul_hi_u32 s3, s8, 0xfffffbe3
	s_mul_i32 s2, s9, 0xfffffbe3
	s_sub_i32 s3, s3, s8
	v_cvt_f64_f32_e32 v[0:1], v0
	s_add_i32 s3, s3, s2
	s_mul_i32 s2, s8, 0xfffffbe3
	v_and_b32_e32 v5, 0xffff, v5
	v_mul_f64 v[0:1], v[0:1], s[12:13]
	s_lshl_b64 s[4:5], s[2:3], 2
	v_lshl_or_b32 v5, v9, 16, v5
	v_mov_b32_e32 v9, s5
	v_add_co_u32_e32 v3, vcc, s4, v3
	v_addc_co_u32_e32 v4, vcc, v4, v9, vcc
	v_and_or_b32 v0, v1, s10, v0
	v_cmp_ne_u32_e32 vcc, 0, v0
	global_store_dword v[3:4], v5, off
	v_cndmask_b32_e64 v0, 0, 1, vcc
	v_lshrrev_b32_e32 v5, 8, v1
	v_bfe_u32 v9, v1, 20, 11
	v_and_or_b32 v0, v5, s11, v0
	v_sub_u32_e32 v11, 0x3f1, v9
	v_or_b32_e32 v5, 0x1000, v0
	v_med3_i32 v11, v11, 0, 13
	v_lshrrev_b32_e32 v12, v11, v5
	v_lshlrev_b32_e32 v11, v11, v12
	v_cmp_ne_u32_e32 vcc, v11, v5
	v_cndmask_b32_e64 v5, 0, 1, vcc
	v_or_b32_e32 v5, v12, v5
	v_mul_f16_sdwa v12, v42, v14 dst_sel:DWORD dst_unused:UNUSED_PAD src0_sel:WORD_1 src1_sel:DWORD
	v_fma_f16 v10, v42, v10, -v12
	v_add_u32_e32 v11, 0xfffffc10, v9
	v_cvt_f32_f16_e32 v10, v10
	v_lshl_or_b32 v9, v11, 12, v0
	v_cmp_gt_i32_e32 vcc, 1, v11
	v_cndmask_b32_e32 v5, v9, v5, vcc
	v_and_b32_e32 v9, 7, v5
	v_cmp_lt_i32_e32 vcc, 5, v9
	v_cmp_eq_u32_e64 s[2:3], 3, v9
	v_cvt_f64_f32_e32 v[9:10], v10
	v_lshrrev_b32_e32 v5, 2, v5
	s_or_b64 vcc, s[2:3], vcc
	v_addc_co_u32_e32 v5, vcc, 0, v5, vcc
	v_mul_f64 v[9:10], v[9:10], s[12:13]
	v_cmp_gt_i32_e32 vcc, 31, v11
	v_cndmask_b32_e32 v5, v2, v5, vcc
	v_cmp_ne_u32_e32 vcc, 0, v0
	v_cndmask_b32_e64 v0, 0, 1, vcc
	v_lshl_or_b32 v0, v0, 9, v2
	v_cmp_eq_u32_e32 vcc, s14, v11
	v_cndmask_b32_e32 v0, v5, v0, vcc
	v_lshrrev_b32_e32 v1, 16, v1
	v_and_or_b32 v5, v1, s15, v0
	v_and_or_b32 v0, v10, s10, v9
	v_cmp_ne_u32_e32 vcc, 0, v0
	v_cndmask_b32_e64 v0, 0, 1, vcc
	v_lshrrev_b32_e32 v1, 8, v10
	v_bfe_u32 v9, v10, 20, 11
	v_and_or_b32 v0, v1, s11, v0
	v_sub_u32_e32 v11, 0x3f1, v9
	v_or_b32_e32 v1, 0x1000, v0
	v_med3_i32 v11, v11, 0, 13
	v_lshrrev_b32_e32 v12, v11, v1
	v_lshlrev_b32_e32 v11, v11, v12
	v_cmp_ne_u32_e32 vcc, v11, v1
	v_cndmask_b32_e64 v1, 0, 1, vcc
	v_add_u32_e32 v9, 0xfffffc10, v9
	v_or_b32_e32 v1, v12, v1
	v_lshl_or_b32 v11, v9, 12, v0
	v_cmp_gt_i32_e32 vcc, 1, v9
	v_cndmask_b32_e32 v1, v11, v1, vcc
	v_and_b32_e32 v11, 7, v1
	v_cmp_lt_i32_e32 vcc, 5, v11
	v_cmp_eq_u32_e64 s[2:3], 3, v11
	v_lshrrev_b32_e32 v1, 2, v1
	s_or_b64 vcc, s[2:3], vcc
	v_addc_co_u32_e32 v1, vcc, 0, v1, vcc
	v_cmp_gt_i32_e32 vcc, 31, v9
	v_lshrrev_b32_e32 v12, 16, v6
	v_cndmask_b32_e32 v11, v2, v1, vcc
	v_mul_f16_sdwa v1, v41, v12 dst_sel:DWORD dst_unused:UNUSED_PAD src0_sel:WORD_1 src1_sel:DWORD
	v_fma_f16 v1, v41, v6, v1
	v_cvt_f32_f16_e32 v1, v1
	v_cmp_ne_u32_e32 vcc, 0, v0
	v_cndmask_b32_e64 v0, 0, 1, vcc
	v_lshl_or_b32 v14, v0, 9, v2
	v_cvt_f64_f32_e32 v[0:1], v1
	v_cmp_eq_u32_e32 vcc, s14, v9
	v_cndmask_b32_e32 v9, v11, v14, vcc
	v_lshrrev_b32_e32 v10, 16, v10
	v_mul_f64 v[0:1], v[0:1], s[12:13]
	v_add_co_u32_e32 v3, vcc, s6, v3
	v_and_or_b32 v9, v10, s15, v9
	v_and_b32_e32 v5, 0xffff, v5
	v_addc_co_u32_e32 v4, vcc, v4, v13, vcc
	v_lshl_or_b32 v5, v9, 16, v5
	v_and_or_b32 v0, v1, s10, v0
	v_cmp_ne_u32_e32 vcc, 0, v0
	global_store_dword v[3:4], v5, off
	v_cndmask_b32_e64 v0, 0, 1, vcc
	v_lshrrev_b32_e32 v5, 8, v1
	v_bfe_u32 v9, v1, 20, 11
	v_and_or_b32 v0, v5, s11, v0
	v_sub_u32_e32 v10, 0x3f1, v9
	v_or_b32_e32 v5, 0x1000, v0
	v_med3_i32 v10, v10, 0, 13
	v_lshrrev_b32_e32 v11, v10, v5
	v_lshlrev_b32_e32 v10, v10, v11
	v_mul_f16_sdwa v6, v41, v6 dst_sel:DWORD dst_unused:UNUSED_PAD src0_sel:WORD_1 src1_sel:DWORD
	v_cmp_ne_u32_e32 vcc, v10, v5
	v_fma_f16 v6, v41, v12, -v6
	v_cndmask_b32_e64 v5, 0, 1, vcc
	v_add_u32_e32 v9, 0xfffffc10, v9
	v_cvt_f32_f16_e32 v6, v6
	v_or_b32_e32 v5, v11, v5
	v_lshl_or_b32 v10, v9, 12, v0
	v_cmp_gt_i32_e32 vcc, 1, v9
	v_cndmask_b32_e32 v5, v10, v5, vcc
	v_and_b32_e32 v10, 7, v5
	v_cmp_lt_i32_e32 vcc, 5, v10
	v_cmp_eq_u32_e64 s[2:3], 3, v10
	v_lshrrev_b32_e32 v10, 2, v5
	v_cvt_f64_f32_e32 v[5:6], v6
	s_or_b64 vcc, s[2:3], vcc
	v_addc_co_u32_e32 v10, vcc, 0, v10, vcc
	v_mul_f64 v[5:6], v[5:6], s[12:13]
	v_cmp_gt_i32_e32 vcc, 31, v9
	v_cndmask_b32_e32 v10, v2, v10, vcc
	v_cmp_ne_u32_e32 vcc, 0, v0
	v_cndmask_b32_e64 v0, 0, 1, vcc
	v_lshl_or_b32 v0, v0, 9, v2
	v_cmp_eq_u32_e32 vcc, s14, v9
	v_cndmask_b32_e32 v0, v10, v0, vcc
	v_lshrrev_b32_e32 v1, 16, v1
	v_and_or_b32 v0, v1, s15, v0
	v_and_or_b32 v1, v6, s10, v5
	v_cmp_ne_u32_e32 vcc, 0, v1
	v_cndmask_b32_e64 v1, 0, 1, vcc
	v_lshrrev_b32_e32 v5, 8, v6
	v_bfe_u32 v9, v6, 20, 11
	v_and_or_b32 v1, v5, s11, v1
	v_sub_u32_e32 v10, 0x3f1, v9
	v_or_b32_e32 v5, 0x1000, v1
	v_med3_i32 v10, v10, 0, 13
	v_lshrrev_b32_e32 v11, v10, v5
	v_lshlrev_b32_e32 v10, v10, v11
	v_cmp_ne_u32_e32 vcc, v10, v5
	v_cndmask_b32_e64 v5, 0, 1, vcc
	v_add_u32_e32 v9, 0xfffffc10, v9
	v_or_b32_e32 v5, v11, v5
	v_lshl_or_b32 v10, v9, 12, v1
	v_cmp_gt_i32_e32 vcc, 1, v9
	v_cndmask_b32_e32 v5, v10, v5, vcc
	v_and_b32_e32 v10, 7, v5
	v_cmp_lt_i32_e32 vcc, 5, v10
	v_cmp_eq_u32_e64 s[2:3], 3, v10
	v_lshrrev_b32_e32 v5, 2, v5
	s_or_b64 vcc, s[2:3], vcc
	v_addc_co_u32_e32 v5, vcc, 0, v5, vcc
	v_cmp_gt_i32_e32 vcc, 31, v9
	v_cndmask_b32_e32 v5, v2, v5, vcc
	v_cmp_ne_u32_e32 vcc, 0, v1
	v_cndmask_b32_e64 v1, 0, 1, vcc
	v_lshl_or_b32 v1, v1, 9, v2
	v_cmp_eq_u32_e32 vcc, s14, v9
	v_cndmask_b32_e32 v1, v5, v1, vcc
	v_lshrrev_b32_e32 v5, 16, v6
	v_and_or_b32 v1, v5, s15, v1
	v_and_b32_e32 v0, 0xffff, v0
	v_lshl_or_b32 v5, v1, 16, v0
	v_add_co_u32_e32 v0, vcc, s6, v3
	v_addc_co_u32_e32 v1, vcc, v4, v13, vcc
	global_store_dword v[0:1], v5, off
	s_and_b64 exec, exec, s[0:1]
	s_cbranch_execz .LBB0_47
; %bb.46:
	global_load_dword v5, v[7:8], off offset:1944
	v_add_co_u32_e32 v3, vcc, s16, v7
	v_addc_co_u32_e32 v4, vcc, 0, v8, vcc
	global_load_dword v9, v[3:4], off offset:440
	ds_read_b32 v6, v40 offset:1944
	ds_read_b32 v10, v40 offset:4536
	;; [unrolled: 1-line block ×3, first 2 shown]
	global_load_dword v12, v[3:4], off offset:3032
	v_mov_b32_e32 v14, s5
	s_waitcnt lgkmcnt(2)
	v_lshrrev_b32_e32 v3, 16, v6
	s_waitcnt lgkmcnt(1)
	v_lshrrev_b32_e32 v13, 16, v10
	v_add_co_u32_e32 v0, vcc, s4, v0
	v_addc_co_u32_e32 v1, vcc, v1, v14, vcc
	s_waitcnt vmcnt(2)
	v_mul_f16_sdwa v4, v3, v5 dst_sel:DWORD dst_unused:UNUSED_PAD src0_sel:DWORD src1_sel:WORD_1
	v_mul_f16_sdwa v7, v6, v5 dst_sel:DWORD dst_unused:UNUSED_PAD src0_sel:DWORD src1_sel:WORD_1
	v_fma_f16 v4, v6, v5, v4
	v_fma_f16 v3, v5, v3, -v7
	v_cvt_f32_f16_e32 v4, v4
	s_waitcnt vmcnt(1)
	v_mul_f16_sdwa v5, v13, v9 dst_sel:DWORD dst_unused:UNUSED_PAD src0_sel:DWORD src1_sel:WORD_1
	v_cvt_f32_f16_e32 v6, v3
	v_fma_f16 v5, v10, v9, v5
	v_cvt_f32_f16_e32 v7, v5
	v_cvt_f64_f32_e32 v[3:4], v4
	v_cvt_f64_f32_e32 v[5:6], v6
	;; [unrolled: 1-line block ×3, first 2 shown]
	v_mul_f64 v[3:4], v[3:4], s[12:13]
	v_mul_f64 v[5:6], v[5:6], s[12:13]
	;; [unrolled: 1-line block ×3, first 2 shown]
	v_and_or_b32 v3, v4, s10, v3
	v_and_or_b32 v5, v6, s10, v5
	v_cmp_ne_u32_e32 vcc, 0, v3
	v_lshrrev_b32_e32 v14, 8, v4
	v_bfe_u32 v15, v4, 20, 11
	v_bfe_u32 v17, v6, 20, 11
	v_cndmask_b32_e64 v3, 0, 1, vcc
	v_cmp_ne_u32_e32 vcc, 0, v5
	v_and_or_b32 v7, v8, s10, v7
	v_lshrrev_b32_e32 v16, 8, v6
	v_sub_u32_e32 v18, 0x3f1, v15
	v_cndmask_b32_e64 v5, 0, 1, vcc
	v_sub_u32_e32 v19, 0x3f1, v17
	v_and_or_b32 v3, v14, s11, v3
	v_cmp_ne_u32_e32 vcc, 0, v7
	v_lshrrev_b32_e32 v20, 8, v8
	v_bfe_u32 v21, v8, 20, 11
	v_med3_i32 v14, v18, 0, 13
	v_and_or_b32 v5, v16, s11, v5
	v_med3_i32 v16, v19, 0, 13
	v_cndmask_b32_e64 v7, 0, 1, vcc
	v_or_b32_e32 v19, 0x1000, v3
	v_add_u32_e32 v15, 0xfffffc10, v15
	v_sub_u32_e32 v18, 0x3f1, v21
	v_cmp_ne_u32_e32 vcc, 0, v3
	v_or_b32_e32 v23, 0x1000, v5
	v_and_or_b32 v7, v20, s11, v7
	v_lshrrev_b32_e32 v20, v14, v19
	v_add_u32_e32 v17, 0xfffffc10, v17
	v_lshl_or_b32 v22, v15, 12, v3
	v_cndmask_b32_e64 v3, 0, 1, vcc
	v_cmp_ne_u32_e32 vcc, 0, v5
	v_med3_i32 v18, v18, 0, 13
	v_lshrrev_b32_e32 v25, v16, v23
	v_or_b32_e32 v26, 0x1000, v7
	v_lshlrev_b32_e32 v14, v14, v20
	v_lshl_or_b32 v24, v17, 12, v5
	v_cndmask_b32_e64 v5, 0, 1, vcc
	v_lshlrev_b32_e32 v16, v16, v25
	v_lshrrev_b32_e32 v27, v18, v26
	v_cmp_ne_u32_e32 vcc, v14, v19
	v_cndmask_b32_e64 v14, 0, 1, vcc
	v_cmp_ne_u32_e32 vcc, v16, v23
	v_lshlrev_b32_e32 v18, v18, v27
	v_cndmask_b32_e64 v16, 0, 1, vcc
	v_cmp_ne_u32_e32 vcc, v18, v26
	v_or_b32_e32 v14, v20, v14
	v_cndmask_b32_e64 v18, 0, 1, vcc
	v_cmp_gt_i32_e32 vcc, 1, v15
	v_cndmask_b32_e32 v14, v22, v14, vcc
	v_or_b32_e32 v16, v25, v16
	v_cmp_gt_i32_e32 vcc, 1, v17
	v_and_b32_e32 v19, 7, v14
	v_cndmask_b32_e32 v16, v24, v16, vcc
	v_cmp_lt_i32_e32 vcc, 5, v19
	v_cmp_eq_u32_e64 s[0:1], 3, v19
	v_lshrrev_b32_e32 v14, 2, v14
	v_and_b32_e32 v20, 7, v16
	s_or_b64 vcc, s[0:1], vcc
	v_cmp_lt_i32_e64 s[2:3], 5, v20
	v_cmp_eq_u32_e64 s[4:5], 3, v20
	v_addc_co_u32_e32 v14, vcc, 0, v14, vcc
	v_lshrrev_b32_e32 v16, 2, v16
	s_or_b64 vcc, s[4:5], s[2:3]
	v_addc_co_u32_e32 v16, vcc, 0, v16, vcc
	v_cmp_gt_i32_e32 vcc, 31, v15
	v_cndmask_b32_e32 v14, v2, v14, vcc
	v_cmp_gt_i32_e32 vcc, 31, v17
	v_lshl_or_b32 v3, v3, 9, v2
	v_cndmask_b32_e32 v16, v2, v16, vcc
	v_cmp_eq_u32_e32 vcc, s14, v15
	v_lshl_or_b32 v5, v5, 9, v2
	v_cndmask_b32_e32 v3, v14, v3, vcc
	v_cmp_eq_u32_e32 vcc, s14, v17
	v_lshrrev_b32_e32 v4, 16, v4
	v_lshrrev_b32_e32 v6, 16, v6
	v_cndmask_b32_e32 v5, v16, v5, vcc
	v_and_or_b32 v3, v4, s15, v3
	v_and_or_b32 v4, v6, s15, v5
	v_mul_f16_sdwa v6, v10, v9 dst_sel:DWORD dst_unused:UNUSED_PAD src0_sel:DWORD src1_sel:WORD_1
	v_and_b32_e32 v3, 0xffff, v3
	v_fma_f16 v6, v9, v13, -v6
	v_lshl_or_b32 v3, v4, 16, v3
	v_add_u32_e32 v5, 0xfffffc10, v21
	v_cvt_f32_f16_e32 v6, v6
	global_store_dword v[0:1], v3, off
	v_or_b32_e32 v3, v27, v18
	v_lshl_or_b32 v4, v5, 12, v7
	v_cmp_gt_i32_e32 vcc, 1, v5
	v_cndmask_b32_e32 v3, v4, v3, vcc
	v_and_b32_e32 v4, 7, v3
	v_cmp_lt_i32_e32 vcc, 5, v4
	v_cmp_eq_u32_e64 s[0:1], 3, v4
	v_lshrrev_b32_e32 v9, 2, v3
	v_cvt_f64_f32_e32 v[3:4], v6
	s_or_b64 vcc, s[0:1], vcc
	v_addc_co_u32_e32 v6, vcc, 0, v9, vcc
	v_mul_f64 v[3:4], v[3:4], s[12:13]
	v_cmp_gt_i32_e32 vcc, 31, v5
	v_cndmask_b32_e32 v6, v2, v6, vcc
	v_cmp_ne_u32_e32 vcc, 0, v7
	v_cndmask_b32_e64 v7, 0, 1, vcc
	v_lshl_or_b32 v7, v7, 9, v2
	v_cmp_eq_u32_e32 vcc, s14, v5
	v_cndmask_b32_e32 v5, v6, v7, vcc
	v_and_or_b32 v3, v4, s10, v3
	v_lshrrev_b32_e32 v6, 16, v8
	v_cmp_ne_u32_e32 vcc, 0, v3
	v_and_or_b32 v7, v6, s15, v5
	v_cndmask_b32_e64 v3, 0, 1, vcc
	v_lshrrev_b32_e32 v5, 8, v4
	v_bfe_u32 v6, v4, 20, 11
	v_and_or_b32 v3, v5, s11, v3
	v_sub_u32_e32 v8, 0x3f1, v6
	v_or_b32_e32 v5, 0x1000, v3
	v_med3_i32 v8, v8, 0, 13
	v_lshrrev_b32_e32 v9, v8, v5
	v_lshlrev_b32_e32 v8, v8, v9
	v_cmp_ne_u32_e32 vcc, v8, v5
	v_cndmask_b32_e64 v5, 0, 1, vcc
	v_add_u32_e32 v6, 0xfffffc10, v6
	v_or_b32_e32 v5, v9, v5
	v_lshl_or_b32 v8, v6, 12, v3
	v_cmp_gt_i32_e32 vcc, 1, v6
	v_cndmask_b32_e32 v5, v8, v5, vcc
	v_and_b32_e32 v8, 7, v5
	v_cmp_lt_i32_e32 vcc, 5, v8
	v_cmp_eq_u32_e64 s[0:1], 3, v8
	s_waitcnt lgkmcnt(0)
	v_lshrrev_b32_e32 v8, 16, v11
	v_lshrrev_b32_e32 v5, 2, v5
	s_or_b64 vcc, s[0:1], vcc
	s_waitcnt vmcnt(1)
	v_mul_f16_sdwa v9, v8, v12 dst_sel:DWORD dst_unused:UNUSED_PAD src0_sel:DWORD src1_sel:WORD_1
	v_addc_co_u32_e32 v5, vcc, 0, v5, vcc
	v_fma_f16 v9, v11, v12, v9
	v_cmp_gt_i32_e32 vcc, 31, v6
	v_cvt_f32_f16_e32 v9, v9
	v_cndmask_b32_e32 v5, v2, v5, vcc
	v_cmp_ne_u32_e32 vcc, 0, v3
	v_cndmask_b32_e64 v3, 0, 1, vcc
	v_lshl_or_b32 v3, v3, 9, v2
	v_cmp_eq_u32_e32 vcc, s14, v6
	v_cndmask_b32_e32 v3, v5, v3, vcc
	v_cvt_f64_f32_e32 v[5:6], v9
	v_lshrrev_b32_e32 v4, 16, v4
	v_and_or_b32 v9, v4, s15, v3
	v_and_b32_e32 v7, 0xffff, v7
	v_mul_f64 v[3:4], v[5:6], s[12:13]
	v_lshl_or_b32 v5, v9, 16, v7
	v_mov_b32_e32 v7, s7
	v_add_co_u32_e32 v0, vcc, s6, v0
	v_addc_co_u32_e32 v1, vcc, v1, v7, vcc
	global_store_dword v[0:1], v5, off
	v_and_or_b32 v3, v4, s10, v3
	v_cmp_ne_u32_e32 vcc, 0, v3
	v_cndmask_b32_e64 v3, 0, 1, vcc
	v_lshrrev_b32_e32 v5, 8, v4
	v_bfe_u32 v6, v4, 20, 11
	v_and_or_b32 v3, v5, s11, v3
	v_sub_u32_e32 v9, 0x3f1, v6
	v_or_b32_e32 v5, 0x1000, v3
	v_med3_i32 v9, v9, 0, 13
	v_lshrrev_b32_e32 v10, v9, v5
	v_lshlrev_b32_e32 v9, v9, v10
	v_cmp_ne_u32_e32 vcc, v9, v5
	v_cndmask_b32_e64 v5, 0, 1, vcc
	v_or_b32_e32 v5, v10, v5
	v_mul_f16_sdwa v10, v11, v12 dst_sel:DWORD dst_unused:UNUSED_PAD src0_sel:DWORD src1_sel:WORD_1
	v_fma_f16 v8, v12, v8, -v10
	v_add_u32_e32 v9, 0xfffffc10, v6
	v_cvt_f32_f16_e32 v8, v8
	v_lshl_or_b32 v6, v9, 12, v3
	v_cmp_gt_i32_e32 vcc, 1, v9
	v_cndmask_b32_e32 v5, v6, v5, vcc
	v_and_b32_e32 v6, 7, v5
	v_cmp_lt_i32_e32 vcc, 5, v6
	v_cmp_eq_u32_e64 s[0:1], 3, v6
	v_lshrrev_b32_e32 v10, 2, v5
	v_cvt_f64_f32_e32 v[5:6], v8
	s_or_b64 vcc, s[0:1], vcc
	v_addc_co_u32_e32 v8, vcc, 0, v10, vcc
	v_mul_f64 v[5:6], v[5:6], s[12:13]
	v_cmp_gt_i32_e32 vcc, 31, v9
	v_cndmask_b32_e32 v8, v2, v8, vcc
	v_cmp_ne_u32_e32 vcc, 0, v3
	v_cndmask_b32_e64 v3, 0, 1, vcc
	v_lshl_or_b32 v3, v3, 9, v2
	v_cmp_eq_u32_e32 vcc, s14, v9
	v_cndmask_b32_e32 v3, v8, v3, vcc
	v_lshrrev_b32_e32 v4, 16, v4
	v_and_or_b32 v3, v4, s15, v3
	v_and_or_b32 v4, v6, s10, v5
	v_cmp_ne_u32_e32 vcc, 0, v4
	v_cndmask_b32_e64 v4, 0, 1, vcc
	v_lshrrev_b32_e32 v5, 8, v6
	v_bfe_u32 v8, v6, 20, 11
	v_and_or_b32 v4, v5, s11, v4
	v_sub_u32_e32 v9, 0x3f1, v8
	v_or_b32_e32 v5, 0x1000, v4
	v_med3_i32 v9, v9, 0, 13
	v_lshrrev_b32_e32 v10, v9, v5
	v_lshlrev_b32_e32 v9, v9, v10
	v_cmp_ne_u32_e32 vcc, v9, v5
	v_cndmask_b32_e64 v5, 0, 1, vcc
	v_add_u32_e32 v8, 0xfffffc10, v8
	v_or_b32_e32 v5, v10, v5
	v_lshl_or_b32 v9, v8, 12, v4
	v_cmp_gt_i32_e32 vcc, 1, v8
	v_cndmask_b32_e32 v5, v9, v5, vcc
	v_and_b32_e32 v9, 7, v5
	v_cmp_lt_i32_e32 vcc, 5, v9
	v_cmp_eq_u32_e64 s[0:1], 3, v9
	v_lshrrev_b32_e32 v5, 2, v5
	s_or_b64 vcc, s[0:1], vcc
	v_addc_co_u32_e32 v5, vcc, 0, v5, vcc
	v_cmp_gt_i32_e32 vcc, 31, v8
	v_cndmask_b32_e32 v5, v2, v5, vcc
	v_cmp_ne_u32_e32 vcc, 0, v4
	v_cndmask_b32_e64 v4, 0, 1, vcc
	v_lshl_or_b32 v2, v4, 9, v2
	v_cmp_eq_u32_e32 vcc, s14, v8
	v_cndmask_b32_e32 v2, v5, v2, vcc
	v_lshrrev_b32_e32 v4, 16, v6
	v_and_or_b32 v2, v4, s15, v2
	v_and_b32_e32 v3, 0xffff, v3
	v_add_co_u32_e32 v0, vcc, s6, v0
	v_lshl_or_b32 v2, v2, 16, v3
	v_addc_co_u32_e32 v1, vcc, v1, v7, vcc
	global_store_dword v[0:1], v2, off
.LBB0_47:
	s_endpgm
	.section	.rodata,"a",@progbits
	.p2align	6, 0x0
	.amdhsa_kernel bluestein_single_fwd_len1944_dim1_half_op_CI_CI
		.amdhsa_group_segment_fixed_size 7776
		.amdhsa_private_segment_fixed_size 0
		.amdhsa_kernarg_size 104
		.amdhsa_user_sgpr_count 6
		.amdhsa_user_sgpr_private_segment_buffer 1
		.amdhsa_user_sgpr_dispatch_ptr 0
		.amdhsa_user_sgpr_queue_ptr 0
		.amdhsa_user_sgpr_kernarg_segment_ptr 1
		.amdhsa_user_sgpr_dispatch_id 0
		.amdhsa_user_sgpr_flat_scratch_init 0
		.amdhsa_user_sgpr_private_segment_size 0
		.amdhsa_uses_dynamic_stack 0
		.amdhsa_system_sgpr_private_segment_wavefront_offset 0
		.amdhsa_system_sgpr_workgroup_id_x 1
		.amdhsa_system_sgpr_workgroup_id_y 0
		.amdhsa_system_sgpr_workgroup_id_z 0
		.amdhsa_system_sgpr_workgroup_info 0
		.amdhsa_system_vgpr_workitem_id 0
		.amdhsa_next_free_vgpr 83
		.amdhsa_next_free_sgpr 20
		.amdhsa_reserve_vcc 1
		.amdhsa_reserve_flat_scratch 0
		.amdhsa_float_round_mode_32 0
		.amdhsa_float_round_mode_16_64 0
		.amdhsa_float_denorm_mode_32 3
		.amdhsa_float_denorm_mode_16_64 3
		.amdhsa_dx10_clamp 1
		.amdhsa_ieee_mode 1
		.amdhsa_fp16_overflow 0
		.amdhsa_exception_fp_ieee_invalid_op 0
		.amdhsa_exception_fp_denorm_src 0
		.amdhsa_exception_fp_ieee_div_zero 0
		.amdhsa_exception_fp_ieee_overflow 0
		.amdhsa_exception_fp_ieee_underflow 0
		.amdhsa_exception_fp_ieee_inexact 0
		.amdhsa_exception_int_div_zero 0
	.end_amdhsa_kernel
	.text
.Lfunc_end0:
	.size	bluestein_single_fwd_len1944_dim1_half_op_CI_CI, .Lfunc_end0-bluestein_single_fwd_len1944_dim1_half_op_CI_CI
                                        ; -- End function
	.section	.AMDGPU.csdata,"",@progbits
; Kernel info:
; codeLenInByte = 15572
; NumSgprs: 24
; NumVgprs: 83
; ScratchSize: 0
; MemoryBound: 0
; FloatMode: 240
; IeeeMode: 1
; LDSByteSize: 7776 bytes/workgroup (compile time only)
; SGPRBlocks: 2
; VGPRBlocks: 20
; NumSGPRsForWavesPerEU: 24
; NumVGPRsForWavesPerEU: 83
; Occupancy: 3
; WaveLimiterHint : 1
; COMPUTE_PGM_RSRC2:SCRATCH_EN: 0
; COMPUTE_PGM_RSRC2:USER_SGPR: 6
; COMPUTE_PGM_RSRC2:TRAP_HANDLER: 0
; COMPUTE_PGM_RSRC2:TGID_X_EN: 1
; COMPUTE_PGM_RSRC2:TGID_Y_EN: 0
; COMPUTE_PGM_RSRC2:TGID_Z_EN: 0
; COMPUTE_PGM_RSRC2:TIDIG_COMP_CNT: 0
	.type	__hip_cuid_43869a9418096e04,@object ; @__hip_cuid_43869a9418096e04
	.section	.bss,"aw",@nobits
	.globl	__hip_cuid_43869a9418096e04
__hip_cuid_43869a9418096e04:
	.byte	0                               ; 0x0
	.size	__hip_cuid_43869a9418096e04, 1

	.ident	"AMD clang version 19.0.0git (https://github.com/RadeonOpenCompute/llvm-project roc-6.4.0 25133 c7fe45cf4b819c5991fe208aaa96edf142730f1d)"
	.section	".note.GNU-stack","",@progbits
	.addrsig
	.addrsig_sym __hip_cuid_43869a9418096e04
	.amdgpu_metadata
---
amdhsa.kernels:
  - .args:
      - .actual_access:  read_only
        .address_space:  global
        .offset:         0
        .size:           8
        .value_kind:     global_buffer
      - .actual_access:  read_only
        .address_space:  global
        .offset:         8
        .size:           8
        .value_kind:     global_buffer
      - .actual_access:  read_only
        .address_space:  global
        .offset:         16
        .size:           8
        .value_kind:     global_buffer
      - .actual_access:  read_only
        .address_space:  global
        .offset:         24
        .size:           8
        .value_kind:     global_buffer
      - .actual_access:  read_only
        .address_space:  global
        .offset:         32
        .size:           8
        .value_kind:     global_buffer
      - .offset:         40
        .size:           8
        .value_kind:     by_value
      - .address_space:  global
        .offset:         48
        .size:           8
        .value_kind:     global_buffer
      - .address_space:  global
        .offset:         56
        .size:           8
        .value_kind:     global_buffer
      - .address_space:  global
        .offset:         64
        .size:           8
        .value_kind:     global_buffer
      - .address_space:  global
        .offset:         72
        .size:           8
        .value_kind:     global_buffer
      - .offset:         80
        .size:           4
        .value_kind:     by_value
      - .address_space:  global
        .offset:         88
        .size:           8
        .value_kind:     global_buffer
      - .address_space:  global
        .offset:         96
        .size:           8
        .value_kind:     global_buffer
    .group_segment_fixed_size: 7776
    .kernarg_segment_align: 8
    .kernarg_segment_size: 104
    .language:       OpenCL C
    .language_version:
      - 2
      - 0
    .max_flat_workgroup_size: 243
    .name:           bluestein_single_fwd_len1944_dim1_half_op_CI_CI
    .private_segment_fixed_size: 0
    .sgpr_count:     24
    .sgpr_spill_count: 0
    .symbol:         bluestein_single_fwd_len1944_dim1_half_op_CI_CI.kd
    .uniform_work_group_size: 1
    .uses_dynamic_stack: false
    .vgpr_count:     83
    .vgpr_spill_count: 0
    .wavefront_size: 64
amdhsa.target:   amdgcn-amd-amdhsa--gfx906
amdhsa.version:
  - 1
  - 2
...

	.end_amdgpu_metadata
